;; amdgpu-corpus repo=ROCm/rocSPARSE kind=compiled arch=gfx906 opt=O3
	.amdgcn_target "amdgcn-amd-amdhsa--gfx906"
	.amdhsa_code_object_version 6
	.section	.text._ZN9rocsparseL20coo2dense_aos_kernelILj512EiDF16_EEvT0_S1_ll21rocsparse_index_base_PKT1_PKS1_PS3_16rocsparse_order_,"axG",@progbits,_ZN9rocsparseL20coo2dense_aos_kernelILj512EiDF16_EEvT0_S1_ll21rocsparse_index_base_PKT1_PKS1_PS3_16rocsparse_order_,comdat
	.globl	_ZN9rocsparseL20coo2dense_aos_kernelILj512EiDF16_EEvT0_S1_ll21rocsparse_index_base_PKT1_PKS1_PS3_16rocsparse_order_ ; -- Begin function _ZN9rocsparseL20coo2dense_aos_kernelILj512EiDF16_EEvT0_S1_ll21rocsparse_index_base_PKT1_PKS1_PS3_16rocsparse_order_
	.p2align	8
	.type	_ZN9rocsparseL20coo2dense_aos_kernelILj512EiDF16_EEvT0_S1_ll21rocsparse_index_base_PKT1_PKS1_PS3_16rocsparse_order_,@function
_ZN9rocsparseL20coo2dense_aos_kernelILj512EiDF16_EEvT0_S1_ll21rocsparse_index_base_PKT1_PKS1_PS3_16rocsparse_order_: ; @_ZN9rocsparseL20coo2dense_aos_kernelILj512EiDF16_EEvT0_S1_ll21rocsparse_index_base_PKT1_PKS1_PS3_16rocsparse_order_
; %bb.0:
	s_load_dwordx4 s[8:11], s[4:5], 0x8
	v_lshl_or_b32 v1, s6, 9, v0
	v_mov_b32_e32 v2, 0
	s_waitcnt lgkmcnt(0)
	v_cmp_gt_i64_e32 vcc, s[8:9], v[1:2]
	s_and_saveexec_b64 s[0:1], vcc
	s_cbranch_execz .LBB0_3
; %bb.1:
	s_load_dwordx2 s[2:3], s[4:5], 0x30
	s_load_dword s0, s[4:5], 0x40
	s_load_dword s1, s[4:5], 0x38
	;; [unrolled: 1-line block ×3, first 2 shown]
	s_load_dwordx4 s[12:15], s[4:5], 0x20
	v_mov_b32_e32 v6, v2
	v_lshlrev_b32_e32 v0, 1, v0
	s_waitcnt lgkmcnt(0)
	s_lshl_b32 s16, s0, 9
	s_cmp_eq_u32 s1, 1
	v_mov_b32_e32 v5, v1
	s_cselect_b64 vcc, -1, 0
	v_add_u32_e32 v3, s16, v1
	v_lshl_or_b32 v1, s6, 10, v0
	s_lshl_b32 s6, s0, 10
	s_mov_b64 s[4:5], 0
	v_mov_b32_e32 v0, s15
	v_mov_b32_e32 v7, s13
	;; [unrolled: 1-line block ×3, first 2 shown]
.LBB0_2:                                ; =>This Inner Loop Header: Depth=1
	v_lshlrev_b64 v[9:10], 2, v[1:2]
	v_lshlrev_b64 v[4:5], 1, v[5:6]
	v_add_co_u32_e64 v9, s[0:1], s14, v9
	v_addc_co_u32_e64 v10, s[0:1], v0, v10, s[0:1]
	global_load_dwordx2 v[9:10], v[9:10], off
	v_add_co_u32_e64 v4, s[0:1], s12, v4
	v_addc_co_u32_e64 v5, s[0:1], v7, v5, s[0:1]
	global_load_ushort v13, v[4:5], off
	v_mov_b32_e32 v4, v2
	v_mov_b32_e32 v6, v4
	;; [unrolled: 1-line block ×3, first 2 shown]
	v_cmp_le_u64_e64 s[0:1], s[8:9], v[3:4]
	v_add_u32_e32 v1, s6, v1
	s_or_b64 s[4:5], s[0:1], s[4:5]
	v_add_u32_e32 v3, s16, v3
	s_waitcnt vmcnt(1)
	v_subrev_u32_e32 v4, s7, v9
	v_subrev_u32_e32 v9, s7, v10
	v_cndmask_b32_e32 v10, v4, v9, vcc
	v_cndmask_b32_e32 v9, v9, v4, vcc
	v_ashrrev_i32_e32 v4, 31, v10
	v_mul_lo_u32 v14, s11, v10
	v_mad_u64_u32 v[11:12], s[0:1], s10, v10, 0
	v_mul_lo_u32 v4, s10, v4
	v_ashrrev_i32_e32 v10, 31, v9
	v_lshlrev_b64 v[9:10], 1, v[9:10]
	v_add3_u32 v12, v12, v4, v14
	v_lshlrev_b64 v[11:12], 1, v[11:12]
	v_add_co_u32_e64 v4, s[0:1], s2, v11
	v_addc_co_u32_e64 v11, s[0:1], v8, v12, s[0:1]
	v_add_co_u32_e64 v9, s[0:1], v4, v9
	v_addc_co_u32_e64 v10, s[0:1], v11, v10, s[0:1]
	s_waitcnt vmcnt(0)
	global_store_short v[9:10], v13, off
	s_andn2_b64 exec, exec, s[4:5]
	s_cbranch_execnz .LBB0_2
.LBB0_3:
	s_endpgm
	.section	.rodata,"a",@progbits
	.p2align	6, 0x0
	.amdhsa_kernel _ZN9rocsparseL20coo2dense_aos_kernelILj512EiDF16_EEvT0_S1_ll21rocsparse_index_base_PKT1_PKS1_PS3_16rocsparse_order_
		.amdhsa_group_segment_fixed_size 0
		.amdhsa_private_segment_fixed_size 0
		.amdhsa_kernarg_size 320
		.amdhsa_user_sgpr_count 6
		.amdhsa_user_sgpr_private_segment_buffer 1
		.amdhsa_user_sgpr_dispatch_ptr 0
		.amdhsa_user_sgpr_queue_ptr 0
		.amdhsa_user_sgpr_kernarg_segment_ptr 1
		.amdhsa_user_sgpr_dispatch_id 0
		.amdhsa_user_sgpr_flat_scratch_init 0
		.amdhsa_user_sgpr_private_segment_size 0
		.amdhsa_uses_dynamic_stack 0
		.amdhsa_system_sgpr_private_segment_wavefront_offset 0
		.amdhsa_system_sgpr_workgroup_id_x 1
		.amdhsa_system_sgpr_workgroup_id_y 0
		.amdhsa_system_sgpr_workgroup_id_z 0
		.amdhsa_system_sgpr_workgroup_info 0
		.amdhsa_system_vgpr_workitem_id 0
		.amdhsa_next_free_vgpr 15
		.amdhsa_next_free_sgpr 17
		.amdhsa_reserve_vcc 1
		.amdhsa_reserve_flat_scratch 0
		.amdhsa_float_round_mode_32 0
		.amdhsa_float_round_mode_16_64 0
		.amdhsa_float_denorm_mode_32 3
		.amdhsa_float_denorm_mode_16_64 3
		.amdhsa_dx10_clamp 1
		.amdhsa_ieee_mode 1
		.amdhsa_fp16_overflow 0
		.amdhsa_exception_fp_ieee_invalid_op 0
		.amdhsa_exception_fp_denorm_src 0
		.amdhsa_exception_fp_ieee_div_zero 0
		.amdhsa_exception_fp_ieee_overflow 0
		.amdhsa_exception_fp_ieee_underflow 0
		.amdhsa_exception_fp_ieee_inexact 0
		.amdhsa_exception_int_div_zero 0
	.end_amdhsa_kernel
	.section	.text._ZN9rocsparseL20coo2dense_aos_kernelILj512EiDF16_EEvT0_S1_ll21rocsparse_index_base_PKT1_PKS1_PS3_16rocsparse_order_,"axG",@progbits,_ZN9rocsparseL20coo2dense_aos_kernelILj512EiDF16_EEvT0_S1_ll21rocsparse_index_base_PKT1_PKS1_PS3_16rocsparse_order_,comdat
.Lfunc_end0:
	.size	_ZN9rocsparseL20coo2dense_aos_kernelILj512EiDF16_EEvT0_S1_ll21rocsparse_index_base_PKT1_PKS1_PS3_16rocsparse_order_, .Lfunc_end0-_ZN9rocsparseL20coo2dense_aos_kernelILj512EiDF16_EEvT0_S1_ll21rocsparse_index_base_PKT1_PKS1_PS3_16rocsparse_order_
                                        ; -- End function
	.set _ZN9rocsparseL20coo2dense_aos_kernelILj512EiDF16_EEvT0_S1_ll21rocsparse_index_base_PKT1_PKS1_PS3_16rocsparse_order_.num_vgpr, 15
	.set _ZN9rocsparseL20coo2dense_aos_kernelILj512EiDF16_EEvT0_S1_ll21rocsparse_index_base_PKT1_PKS1_PS3_16rocsparse_order_.num_agpr, 0
	.set _ZN9rocsparseL20coo2dense_aos_kernelILj512EiDF16_EEvT0_S1_ll21rocsparse_index_base_PKT1_PKS1_PS3_16rocsparse_order_.numbered_sgpr, 17
	.set _ZN9rocsparseL20coo2dense_aos_kernelILj512EiDF16_EEvT0_S1_ll21rocsparse_index_base_PKT1_PKS1_PS3_16rocsparse_order_.num_named_barrier, 0
	.set _ZN9rocsparseL20coo2dense_aos_kernelILj512EiDF16_EEvT0_S1_ll21rocsparse_index_base_PKT1_PKS1_PS3_16rocsparse_order_.private_seg_size, 0
	.set _ZN9rocsparseL20coo2dense_aos_kernelILj512EiDF16_EEvT0_S1_ll21rocsparse_index_base_PKT1_PKS1_PS3_16rocsparse_order_.uses_vcc, 1
	.set _ZN9rocsparseL20coo2dense_aos_kernelILj512EiDF16_EEvT0_S1_ll21rocsparse_index_base_PKT1_PKS1_PS3_16rocsparse_order_.uses_flat_scratch, 0
	.set _ZN9rocsparseL20coo2dense_aos_kernelILj512EiDF16_EEvT0_S1_ll21rocsparse_index_base_PKT1_PKS1_PS3_16rocsparse_order_.has_dyn_sized_stack, 0
	.set _ZN9rocsparseL20coo2dense_aos_kernelILj512EiDF16_EEvT0_S1_ll21rocsparse_index_base_PKT1_PKS1_PS3_16rocsparse_order_.has_recursion, 0
	.set _ZN9rocsparseL20coo2dense_aos_kernelILj512EiDF16_EEvT0_S1_ll21rocsparse_index_base_PKT1_PKS1_PS3_16rocsparse_order_.has_indirect_call, 0
	.section	.AMDGPU.csdata,"",@progbits
; Kernel info:
; codeLenInByte = 364
; TotalNumSgprs: 21
; NumVgprs: 15
; ScratchSize: 0
; MemoryBound: 0
; FloatMode: 240
; IeeeMode: 1
; LDSByteSize: 0 bytes/workgroup (compile time only)
; SGPRBlocks: 2
; VGPRBlocks: 3
; NumSGPRsForWavesPerEU: 21
; NumVGPRsForWavesPerEU: 15
; Occupancy: 10
; WaveLimiterHint : 1
; COMPUTE_PGM_RSRC2:SCRATCH_EN: 0
; COMPUTE_PGM_RSRC2:USER_SGPR: 6
; COMPUTE_PGM_RSRC2:TRAP_HANDLER: 0
; COMPUTE_PGM_RSRC2:TGID_X_EN: 1
; COMPUTE_PGM_RSRC2:TGID_Y_EN: 0
; COMPUTE_PGM_RSRC2:TGID_Z_EN: 0
; COMPUTE_PGM_RSRC2:TIDIG_COMP_CNT: 0
	.section	.text._ZN9rocsparseL20coo2dense_aos_kernelILj512EifEEvT0_S1_ll21rocsparse_index_base_PKT1_PKS1_PS3_16rocsparse_order_,"axG",@progbits,_ZN9rocsparseL20coo2dense_aos_kernelILj512EifEEvT0_S1_ll21rocsparse_index_base_PKT1_PKS1_PS3_16rocsparse_order_,comdat
	.globl	_ZN9rocsparseL20coo2dense_aos_kernelILj512EifEEvT0_S1_ll21rocsparse_index_base_PKT1_PKS1_PS3_16rocsparse_order_ ; -- Begin function _ZN9rocsparseL20coo2dense_aos_kernelILj512EifEEvT0_S1_ll21rocsparse_index_base_PKT1_PKS1_PS3_16rocsparse_order_
	.p2align	8
	.type	_ZN9rocsparseL20coo2dense_aos_kernelILj512EifEEvT0_S1_ll21rocsparse_index_base_PKT1_PKS1_PS3_16rocsparse_order_,@function
_ZN9rocsparseL20coo2dense_aos_kernelILj512EifEEvT0_S1_ll21rocsparse_index_base_PKT1_PKS1_PS3_16rocsparse_order_: ; @_ZN9rocsparseL20coo2dense_aos_kernelILj512EifEEvT0_S1_ll21rocsparse_index_base_PKT1_PKS1_PS3_16rocsparse_order_
; %bb.0:
	s_load_dwordx4 s[8:11], s[4:5], 0x8
	v_lshl_or_b32 v1, s6, 9, v0
	v_mov_b32_e32 v2, 0
	s_waitcnt lgkmcnt(0)
	v_cmp_gt_i64_e32 vcc, s[8:9], v[1:2]
	s_and_saveexec_b64 s[0:1], vcc
	s_cbranch_execz .LBB1_3
; %bb.1:
	s_load_dwordx2 s[2:3], s[4:5], 0x30
	s_load_dword s0, s[4:5], 0x40
	s_load_dword s1, s[4:5], 0x38
	;; [unrolled: 1-line block ×3, first 2 shown]
	s_load_dwordx4 s[12:15], s[4:5], 0x20
	v_mov_b32_e32 v6, v2
	v_lshlrev_b32_e32 v0, 1, v0
	s_waitcnt lgkmcnt(0)
	s_lshl_b32 s16, s0, 9
	s_cmp_eq_u32 s1, 1
	v_mov_b32_e32 v5, v1
	s_cselect_b64 vcc, -1, 0
	v_add_u32_e32 v3, s16, v1
	v_lshl_or_b32 v1, s6, 10, v0
	s_lshl_b32 s6, s0, 10
	s_mov_b64 s[4:5], 0
	v_mov_b32_e32 v0, s15
	v_mov_b32_e32 v7, s13
	;; [unrolled: 1-line block ×3, first 2 shown]
.LBB1_2:                                ; =>This Inner Loop Header: Depth=1
	v_lshlrev_b64 v[9:10], 2, v[1:2]
	v_lshlrev_b64 v[4:5], 2, v[5:6]
	v_add_co_u32_e64 v9, s[0:1], s14, v9
	v_addc_co_u32_e64 v10, s[0:1], v0, v10, s[0:1]
	global_load_dwordx2 v[9:10], v[9:10], off
	v_add_co_u32_e64 v4, s[0:1], s12, v4
	v_addc_co_u32_e64 v5, s[0:1], v7, v5, s[0:1]
	global_load_dword v13, v[4:5], off
	v_mov_b32_e32 v4, v2
	v_mov_b32_e32 v6, v4
	;; [unrolled: 1-line block ×3, first 2 shown]
	v_cmp_le_u64_e64 s[0:1], s[8:9], v[3:4]
	v_add_u32_e32 v1, s6, v1
	s_or_b64 s[4:5], s[0:1], s[4:5]
	v_add_u32_e32 v3, s16, v3
	s_waitcnt vmcnt(1)
	v_subrev_u32_e32 v4, s7, v9
	v_subrev_u32_e32 v9, s7, v10
	v_cndmask_b32_e32 v10, v4, v9, vcc
	v_cndmask_b32_e32 v9, v9, v4, vcc
	v_ashrrev_i32_e32 v4, 31, v10
	v_mul_lo_u32 v14, s11, v10
	v_mad_u64_u32 v[11:12], s[0:1], s10, v10, 0
	v_mul_lo_u32 v4, s10, v4
	v_ashrrev_i32_e32 v10, 31, v9
	v_lshlrev_b64 v[9:10], 2, v[9:10]
	v_add3_u32 v12, v12, v4, v14
	v_lshlrev_b64 v[11:12], 2, v[11:12]
	v_add_co_u32_e64 v4, s[0:1], s2, v11
	v_addc_co_u32_e64 v11, s[0:1], v8, v12, s[0:1]
	v_add_co_u32_e64 v9, s[0:1], v4, v9
	v_addc_co_u32_e64 v10, s[0:1], v11, v10, s[0:1]
	s_waitcnt vmcnt(0)
	global_store_dword v[9:10], v13, off
	s_andn2_b64 exec, exec, s[4:5]
	s_cbranch_execnz .LBB1_2
.LBB1_3:
	s_endpgm
	.section	.rodata,"a",@progbits
	.p2align	6, 0x0
	.amdhsa_kernel _ZN9rocsparseL20coo2dense_aos_kernelILj512EifEEvT0_S1_ll21rocsparse_index_base_PKT1_PKS1_PS3_16rocsparse_order_
		.amdhsa_group_segment_fixed_size 0
		.amdhsa_private_segment_fixed_size 0
		.amdhsa_kernarg_size 320
		.amdhsa_user_sgpr_count 6
		.amdhsa_user_sgpr_private_segment_buffer 1
		.amdhsa_user_sgpr_dispatch_ptr 0
		.amdhsa_user_sgpr_queue_ptr 0
		.amdhsa_user_sgpr_kernarg_segment_ptr 1
		.amdhsa_user_sgpr_dispatch_id 0
		.amdhsa_user_sgpr_flat_scratch_init 0
		.amdhsa_user_sgpr_private_segment_size 0
		.amdhsa_uses_dynamic_stack 0
		.amdhsa_system_sgpr_private_segment_wavefront_offset 0
		.amdhsa_system_sgpr_workgroup_id_x 1
		.amdhsa_system_sgpr_workgroup_id_y 0
		.amdhsa_system_sgpr_workgroup_id_z 0
		.amdhsa_system_sgpr_workgroup_info 0
		.amdhsa_system_vgpr_workitem_id 0
		.amdhsa_next_free_vgpr 15
		.amdhsa_next_free_sgpr 17
		.amdhsa_reserve_vcc 1
		.amdhsa_reserve_flat_scratch 0
		.amdhsa_float_round_mode_32 0
		.amdhsa_float_round_mode_16_64 0
		.amdhsa_float_denorm_mode_32 3
		.amdhsa_float_denorm_mode_16_64 3
		.amdhsa_dx10_clamp 1
		.amdhsa_ieee_mode 1
		.amdhsa_fp16_overflow 0
		.amdhsa_exception_fp_ieee_invalid_op 0
		.amdhsa_exception_fp_denorm_src 0
		.amdhsa_exception_fp_ieee_div_zero 0
		.amdhsa_exception_fp_ieee_overflow 0
		.amdhsa_exception_fp_ieee_underflow 0
		.amdhsa_exception_fp_ieee_inexact 0
		.amdhsa_exception_int_div_zero 0
	.end_amdhsa_kernel
	.section	.text._ZN9rocsparseL20coo2dense_aos_kernelILj512EifEEvT0_S1_ll21rocsparse_index_base_PKT1_PKS1_PS3_16rocsparse_order_,"axG",@progbits,_ZN9rocsparseL20coo2dense_aos_kernelILj512EifEEvT0_S1_ll21rocsparse_index_base_PKT1_PKS1_PS3_16rocsparse_order_,comdat
.Lfunc_end1:
	.size	_ZN9rocsparseL20coo2dense_aos_kernelILj512EifEEvT0_S1_ll21rocsparse_index_base_PKT1_PKS1_PS3_16rocsparse_order_, .Lfunc_end1-_ZN9rocsparseL20coo2dense_aos_kernelILj512EifEEvT0_S1_ll21rocsparse_index_base_PKT1_PKS1_PS3_16rocsparse_order_
                                        ; -- End function
	.set _ZN9rocsparseL20coo2dense_aos_kernelILj512EifEEvT0_S1_ll21rocsparse_index_base_PKT1_PKS1_PS3_16rocsparse_order_.num_vgpr, 15
	.set _ZN9rocsparseL20coo2dense_aos_kernelILj512EifEEvT0_S1_ll21rocsparse_index_base_PKT1_PKS1_PS3_16rocsparse_order_.num_agpr, 0
	.set _ZN9rocsparseL20coo2dense_aos_kernelILj512EifEEvT0_S1_ll21rocsparse_index_base_PKT1_PKS1_PS3_16rocsparse_order_.numbered_sgpr, 17
	.set _ZN9rocsparseL20coo2dense_aos_kernelILj512EifEEvT0_S1_ll21rocsparse_index_base_PKT1_PKS1_PS3_16rocsparse_order_.num_named_barrier, 0
	.set _ZN9rocsparseL20coo2dense_aos_kernelILj512EifEEvT0_S1_ll21rocsparse_index_base_PKT1_PKS1_PS3_16rocsparse_order_.private_seg_size, 0
	.set _ZN9rocsparseL20coo2dense_aos_kernelILj512EifEEvT0_S1_ll21rocsparse_index_base_PKT1_PKS1_PS3_16rocsparse_order_.uses_vcc, 1
	.set _ZN9rocsparseL20coo2dense_aos_kernelILj512EifEEvT0_S1_ll21rocsparse_index_base_PKT1_PKS1_PS3_16rocsparse_order_.uses_flat_scratch, 0
	.set _ZN9rocsparseL20coo2dense_aos_kernelILj512EifEEvT0_S1_ll21rocsparse_index_base_PKT1_PKS1_PS3_16rocsparse_order_.has_dyn_sized_stack, 0
	.set _ZN9rocsparseL20coo2dense_aos_kernelILj512EifEEvT0_S1_ll21rocsparse_index_base_PKT1_PKS1_PS3_16rocsparse_order_.has_recursion, 0
	.set _ZN9rocsparseL20coo2dense_aos_kernelILj512EifEEvT0_S1_ll21rocsparse_index_base_PKT1_PKS1_PS3_16rocsparse_order_.has_indirect_call, 0
	.section	.AMDGPU.csdata,"",@progbits
; Kernel info:
; codeLenInByte = 364
; TotalNumSgprs: 21
; NumVgprs: 15
; ScratchSize: 0
; MemoryBound: 0
; FloatMode: 240
; IeeeMode: 1
; LDSByteSize: 0 bytes/workgroup (compile time only)
; SGPRBlocks: 2
; VGPRBlocks: 3
; NumSGPRsForWavesPerEU: 21
; NumVGPRsForWavesPerEU: 15
; Occupancy: 10
; WaveLimiterHint : 1
; COMPUTE_PGM_RSRC2:SCRATCH_EN: 0
; COMPUTE_PGM_RSRC2:USER_SGPR: 6
; COMPUTE_PGM_RSRC2:TRAP_HANDLER: 0
; COMPUTE_PGM_RSRC2:TGID_X_EN: 1
; COMPUTE_PGM_RSRC2:TGID_Y_EN: 0
; COMPUTE_PGM_RSRC2:TGID_Z_EN: 0
; COMPUTE_PGM_RSRC2:TIDIG_COMP_CNT: 0
	.section	.text._ZN9rocsparseL20coo2dense_aos_kernelILj512EidEEvT0_S1_ll21rocsparse_index_base_PKT1_PKS1_PS3_16rocsparse_order_,"axG",@progbits,_ZN9rocsparseL20coo2dense_aos_kernelILj512EidEEvT0_S1_ll21rocsparse_index_base_PKT1_PKS1_PS3_16rocsparse_order_,comdat
	.globl	_ZN9rocsparseL20coo2dense_aos_kernelILj512EidEEvT0_S1_ll21rocsparse_index_base_PKT1_PKS1_PS3_16rocsparse_order_ ; -- Begin function _ZN9rocsparseL20coo2dense_aos_kernelILj512EidEEvT0_S1_ll21rocsparse_index_base_PKT1_PKS1_PS3_16rocsparse_order_
	.p2align	8
	.type	_ZN9rocsparseL20coo2dense_aos_kernelILj512EidEEvT0_S1_ll21rocsparse_index_base_PKT1_PKS1_PS3_16rocsparse_order_,@function
_ZN9rocsparseL20coo2dense_aos_kernelILj512EidEEvT0_S1_ll21rocsparse_index_base_PKT1_PKS1_PS3_16rocsparse_order_: ; @_ZN9rocsparseL20coo2dense_aos_kernelILj512EidEEvT0_S1_ll21rocsparse_index_base_PKT1_PKS1_PS3_16rocsparse_order_
; %bb.0:
	s_load_dwordx4 s[8:11], s[4:5], 0x8
	v_lshl_or_b32 v1, s6, 9, v0
	v_mov_b32_e32 v2, 0
	s_waitcnt lgkmcnt(0)
	v_cmp_gt_i64_e32 vcc, s[8:9], v[1:2]
	s_and_saveexec_b64 s[0:1], vcc
	s_cbranch_execz .LBB2_3
; %bb.1:
	s_load_dwordx2 s[2:3], s[4:5], 0x30
	s_load_dword s0, s[4:5], 0x40
	s_load_dword s1, s[4:5], 0x38
	;; [unrolled: 1-line block ×3, first 2 shown]
	s_load_dwordx4 s[12:15], s[4:5], 0x20
	v_mov_b32_e32 v6, v2
	v_lshlrev_b32_e32 v0, 1, v0
	s_waitcnt lgkmcnt(0)
	s_lshl_b32 s16, s0, 9
	s_cmp_eq_u32 s1, 1
	v_mov_b32_e32 v5, v1
	s_cselect_b64 vcc, -1, 0
	v_add_u32_e32 v3, s16, v1
	v_lshl_or_b32 v1, s6, 10, v0
	s_lshl_b32 s6, s0, 10
	s_mov_b64 s[4:5], 0
	v_mov_b32_e32 v0, s15
	v_mov_b32_e32 v7, s13
	;; [unrolled: 1-line block ×3, first 2 shown]
.LBB2_2:                                ; =>This Inner Loop Header: Depth=1
	v_lshlrev_b64 v[9:10], 2, v[1:2]
	v_lshlrev_b64 v[4:5], 3, v[5:6]
	v_add_co_u32_e64 v9, s[0:1], s14, v9
	v_addc_co_u32_e64 v10, s[0:1], v0, v10, s[0:1]
	global_load_dwordx2 v[9:10], v[9:10], off
	v_add_co_u32_e64 v4, s[0:1], s12, v4
	v_addc_co_u32_e64 v5, s[0:1], v7, v5, s[0:1]
	global_load_dwordx2 v[11:12], v[4:5], off
	v_mov_b32_e32 v4, v2
	v_mov_b32_e32 v6, v4
	;; [unrolled: 1-line block ×3, first 2 shown]
	v_cmp_le_u64_e64 s[0:1], s[8:9], v[3:4]
	v_add_u32_e32 v1, s6, v1
	s_or_b64 s[4:5], s[0:1], s[4:5]
	v_add_u32_e32 v3, s16, v3
	s_waitcnt vmcnt(1)
	v_subrev_u32_e32 v4, s7, v9
	v_subrev_u32_e32 v9, s7, v10
	v_cndmask_b32_e32 v10, v4, v9, vcc
	v_cndmask_b32_e32 v9, v9, v4, vcc
	v_ashrrev_i32_e32 v4, 31, v10
	v_mul_lo_u32 v15, s11, v10
	v_mad_u64_u32 v[13:14], s[0:1], s10, v10, 0
	v_mul_lo_u32 v4, s10, v4
	v_ashrrev_i32_e32 v10, 31, v9
	v_lshlrev_b64 v[9:10], 3, v[9:10]
	v_add3_u32 v14, v14, v4, v15
	v_lshlrev_b64 v[13:14], 3, v[13:14]
	v_add_co_u32_e64 v4, s[0:1], s2, v13
	v_addc_co_u32_e64 v13, s[0:1], v8, v14, s[0:1]
	v_add_co_u32_e64 v9, s[0:1], v4, v9
	v_addc_co_u32_e64 v10, s[0:1], v13, v10, s[0:1]
	s_waitcnt vmcnt(0)
	global_store_dwordx2 v[9:10], v[11:12], off
	s_andn2_b64 exec, exec, s[4:5]
	s_cbranch_execnz .LBB2_2
.LBB2_3:
	s_endpgm
	.section	.rodata,"a",@progbits
	.p2align	6, 0x0
	.amdhsa_kernel _ZN9rocsparseL20coo2dense_aos_kernelILj512EidEEvT0_S1_ll21rocsparse_index_base_PKT1_PKS1_PS3_16rocsparse_order_
		.amdhsa_group_segment_fixed_size 0
		.amdhsa_private_segment_fixed_size 0
		.amdhsa_kernarg_size 320
		.amdhsa_user_sgpr_count 6
		.amdhsa_user_sgpr_private_segment_buffer 1
		.amdhsa_user_sgpr_dispatch_ptr 0
		.amdhsa_user_sgpr_queue_ptr 0
		.amdhsa_user_sgpr_kernarg_segment_ptr 1
		.amdhsa_user_sgpr_dispatch_id 0
		.amdhsa_user_sgpr_flat_scratch_init 0
		.amdhsa_user_sgpr_private_segment_size 0
		.amdhsa_uses_dynamic_stack 0
		.amdhsa_system_sgpr_private_segment_wavefront_offset 0
		.amdhsa_system_sgpr_workgroup_id_x 1
		.amdhsa_system_sgpr_workgroup_id_y 0
		.amdhsa_system_sgpr_workgroup_id_z 0
		.amdhsa_system_sgpr_workgroup_info 0
		.amdhsa_system_vgpr_workitem_id 0
		.amdhsa_next_free_vgpr 16
		.amdhsa_next_free_sgpr 17
		.amdhsa_reserve_vcc 1
		.amdhsa_reserve_flat_scratch 0
		.amdhsa_float_round_mode_32 0
		.amdhsa_float_round_mode_16_64 0
		.amdhsa_float_denorm_mode_32 3
		.amdhsa_float_denorm_mode_16_64 3
		.amdhsa_dx10_clamp 1
		.amdhsa_ieee_mode 1
		.amdhsa_fp16_overflow 0
		.amdhsa_exception_fp_ieee_invalid_op 0
		.amdhsa_exception_fp_denorm_src 0
		.amdhsa_exception_fp_ieee_div_zero 0
		.amdhsa_exception_fp_ieee_overflow 0
		.amdhsa_exception_fp_ieee_underflow 0
		.amdhsa_exception_fp_ieee_inexact 0
		.amdhsa_exception_int_div_zero 0
	.end_amdhsa_kernel
	.section	.text._ZN9rocsparseL20coo2dense_aos_kernelILj512EidEEvT0_S1_ll21rocsparse_index_base_PKT1_PKS1_PS3_16rocsparse_order_,"axG",@progbits,_ZN9rocsparseL20coo2dense_aos_kernelILj512EidEEvT0_S1_ll21rocsparse_index_base_PKT1_PKS1_PS3_16rocsparse_order_,comdat
.Lfunc_end2:
	.size	_ZN9rocsparseL20coo2dense_aos_kernelILj512EidEEvT0_S1_ll21rocsparse_index_base_PKT1_PKS1_PS3_16rocsparse_order_, .Lfunc_end2-_ZN9rocsparseL20coo2dense_aos_kernelILj512EidEEvT0_S1_ll21rocsparse_index_base_PKT1_PKS1_PS3_16rocsparse_order_
                                        ; -- End function
	.set _ZN9rocsparseL20coo2dense_aos_kernelILj512EidEEvT0_S1_ll21rocsparse_index_base_PKT1_PKS1_PS3_16rocsparse_order_.num_vgpr, 16
	.set _ZN9rocsparseL20coo2dense_aos_kernelILj512EidEEvT0_S1_ll21rocsparse_index_base_PKT1_PKS1_PS3_16rocsparse_order_.num_agpr, 0
	.set _ZN9rocsparseL20coo2dense_aos_kernelILj512EidEEvT0_S1_ll21rocsparse_index_base_PKT1_PKS1_PS3_16rocsparse_order_.numbered_sgpr, 17
	.set _ZN9rocsparseL20coo2dense_aos_kernelILj512EidEEvT0_S1_ll21rocsparse_index_base_PKT1_PKS1_PS3_16rocsparse_order_.num_named_barrier, 0
	.set _ZN9rocsparseL20coo2dense_aos_kernelILj512EidEEvT0_S1_ll21rocsparse_index_base_PKT1_PKS1_PS3_16rocsparse_order_.private_seg_size, 0
	.set _ZN9rocsparseL20coo2dense_aos_kernelILj512EidEEvT0_S1_ll21rocsparse_index_base_PKT1_PKS1_PS3_16rocsparse_order_.uses_vcc, 1
	.set _ZN9rocsparseL20coo2dense_aos_kernelILj512EidEEvT0_S1_ll21rocsparse_index_base_PKT1_PKS1_PS3_16rocsparse_order_.uses_flat_scratch, 0
	.set _ZN9rocsparseL20coo2dense_aos_kernelILj512EidEEvT0_S1_ll21rocsparse_index_base_PKT1_PKS1_PS3_16rocsparse_order_.has_dyn_sized_stack, 0
	.set _ZN9rocsparseL20coo2dense_aos_kernelILj512EidEEvT0_S1_ll21rocsparse_index_base_PKT1_PKS1_PS3_16rocsparse_order_.has_recursion, 0
	.set _ZN9rocsparseL20coo2dense_aos_kernelILj512EidEEvT0_S1_ll21rocsparse_index_base_PKT1_PKS1_PS3_16rocsparse_order_.has_indirect_call, 0
	.section	.AMDGPU.csdata,"",@progbits
; Kernel info:
; codeLenInByte = 364
; TotalNumSgprs: 21
; NumVgprs: 16
; ScratchSize: 0
; MemoryBound: 0
; FloatMode: 240
; IeeeMode: 1
; LDSByteSize: 0 bytes/workgroup (compile time only)
; SGPRBlocks: 2
; VGPRBlocks: 3
; NumSGPRsForWavesPerEU: 21
; NumVGPRsForWavesPerEU: 16
; Occupancy: 10
; WaveLimiterHint : 1
; COMPUTE_PGM_RSRC2:SCRATCH_EN: 0
; COMPUTE_PGM_RSRC2:USER_SGPR: 6
; COMPUTE_PGM_RSRC2:TRAP_HANDLER: 0
; COMPUTE_PGM_RSRC2:TGID_X_EN: 1
; COMPUTE_PGM_RSRC2:TGID_Y_EN: 0
; COMPUTE_PGM_RSRC2:TGID_Z_EN: 0
; COMPUTE_PGM_RSRC2:TIDIG_COMP_CNT: 0
	.section	.text._ZN9rocsparseL20coo2dense_aos_kernelILj512Ei21rocsparse_complex_numIfEEEvT0_S3_ll21rocsparse_index_base_PKT1_PKS3_PS5_16rocsparse_order_,"axG",@progbits,_ZN9rocsparseL20coo2dense_aos_kernelILj512Ei21rocsparse_complex_numIfEEEvT0_S3_ll21rocsparse_index_base_PKT1_PKS3_PS5_16rocsparse_order_,comdat
	.globl	_ZN9rocsparseL20coo2dense_aos_kernelILj512Ei21rocsparse_complex_numIfEEEvT0_S3_ll21rocsparse_index_base_PKT1_PKS3_PS5_16rocsparse_order_ ; -- Begin function _ZN9rocsparseL20coo2dense_aos_kernelILj512Ei21rocsparse_complex_numIfEEEvT0_S3_ll21rocsparse_index_base_PKT1_PKS3_PS5_16rocsparse_order_
	.p2align	8
	.type	_ZN9rocsparseL20coo2dense_aos_kernelILj512Ei21rocsparse_complex_numIfEEEvT0_S3_ll21rocsparse_index_base_PKT1_PKS3_PS5_16rocsparse_order_,@function
_ZN9rocsparseL20coo2dense_aos_kernelILj512Ei21rocsparse_complex_numIfEEEvT0_S3_ll21rocsparse_index_base_PKT1_PKS3_PS5_16rocsparse_order_: ; @_ZN9rocsparseL20coo2dense_aos_kernelILj512Ei21rocsparse_complex_numIfEEEvT0_S3_ll21rocsparse_index_base_PKT1_PKS3_PS5_16rocsparse_order_
; %bb.0:
	s_load_dwordx4 s[8:11], s[4:5], 0x8
	v_lshl_or_b32 v1, s6, 9, v0
	v_mov_b32_e32 v2, 0
	s_waitcnt lgkmcnt(0)
	v_cmp_gt_i64_e32 vcc, s[8:9], v[1:2]
	s_and_saveexec_b64 s[0:1], vcc
	s_cbranch_execz .LBB3_3
; %bb.1:
	s_load_dwordx2 s[2:3], s[4:5], 0x30
	s_load_dword s0, s[4:5], 0x40
	s_load_dword s1, s[4:5], 0x38
	;; [unrolled: 1-line block ×3, first 2 shown]
	s_load_dwordx4 s[12:15], s[4:5], 0x20
	v_mov_b32_e32 v6, v2
	v_lshlrev_b32_e32 v0, 1, v0
	s_waitcnt lgkmcnt(0)
	s_lshl_b32 s16, s0, 9
	s_cmp_eq_u32 s1, 1
	v_mov_b32_e32 v5, v1
	s_cselect_b64 vcc, -1, 0
	v_add_u32_e32 v3, s16, v1
	v_lshl_or_b32 v1, s6, 10, v0
	s_lshl_b32 s6, s0, 10
	s_mov_b64 s[4:5], 0
	v_mov_b32_e32 v0, s15
	v_mov_b32_e32 v7, s13
	v_mov_b32_e32 v8, s3
.LBB3_2:                                ; =>This Inner Loop Header: Depth=1
	v_lshlrev_b64 v[9:10], 2, v[1:2]
	v_lshlrev_b64 v[4:5], 3, v[5:6]
	v_add_co_u32_e64 v9, s[0:1], s14, v9
	v_addc_co_u32_e64 v10, s[0:1], v0, v10, s[0:1]
	global_load_dwordx2 v[9:10], v[9:10], off
	v_add_co_u32_e64 v4, s[0:1], s12, v4
	v_addc_co_u32_e64 v5, s[0:1], v7, v5, s[0:1]
	global_load_dwordx2 v[11:12], v[4:5], off
	v_mov_b32_e32 v4, v2
	v_mov_b32_e32 v6, v4
	;; [unrolled: 1-line block ×3, first 2 shown]
	v_cmp_le_u64_e64 s[0:1], s[8:9], v[3:4]
	v_add_u32_e32 v1, s6, v1
	s_or_b64 s[4:5], s[0:1], s[4:5]
	v_add_u32_e32 v3, s16, v3
	s_waitcnt vmcnt(1)
	v_subrev_u32_e32 v4, s7, v9
	v_subrev_u32_e32 v9, s7, v10
	v_cndmask_b32_e32 v10, v4, v9, vcc
	v_cndmask_b32_e32 v9, v9, v4, vcc
	v_ashrrev_i32_e32 v4, 31, v10
	v_mul_lo_u32 v15, s11, v10
	v_mad_u64_u32 v[13:14], s[0:1], s10, v10, 0
	v_mul_lo_u32 v4, s10, v4
	v_ashrrev_i32_e32 v10, 31, v9
	v_lshlrev_b64 v[9:10], 3, v[9:10]
	v_add3_u32 v14, v14, v4, v15
	v_lshlrev_b64 v[13:14], 3, v[13:14]
	v_add_co_u32_e64 v4, s[0:1], s2, v13
	v_addc_co_u32_e64 v13, s[0:1], v8, v14, s[0:1]
	v_add_co_u32_e64 v9, s[0:1], v4, v9
	v_addc_co_u32_e64 v10, s[0:1], v13, v10, s[0:1]
	s_waitcnt vmcnt(0)
	global_store_dwordx2 v[9:10], v[11:12], off
	s_andn2_b64 exec, exec, s[4:5]
	s_cbranch_execnz .LBB3_2
.LBB3_3:
	s_endpgm
	.section	.rodata,"a",@progbits
	.p2align	6, 0x0
	.amdhsa_kernel _ZN9rocsparseL20coo2dense_aos_kernelILj512Ei21rocsparse_complex_numIfEEEvT0_S3_ll21rocsparse_index_base_PKT1_PKS3_PS5_16rocsparse_order_
		.amdhsa_group_segment_fixed_size 0
		.amdhsa_private_segment_fixed_size 0
		.amdhsa_kernarg_size 320
		.amdhsa_user_sgpr_count 6
		.amdhsa_user_sgpr_private_segment_buffer 1
		.amdhsa_user_sgpr_dispatch_ptr 0
		.amdhsa_user_sgpr_queue_ptr 0
		.amdhsa_user_sgpr_kernarg_segment_ptr 1
		.amdhsa_user_sgpr_dispatch_id 0
		.amdhsa_user_sgpr_flat_scratch_init 0
		.amdhsa_user_sgpr_private_segment_size 0
		.amdhsa_uses_dynamic_stack 0
		.amdhsa_system_sgpr_private_segment_wavefront_offset 0
		.amdhsa_system_sgpr_workgroup_id_x 1
		.amdhsa_system_sgpr_workgroup_id_y 0
		.amdhsa_system_sgpr_workgroup_id_z 0
		.amdhsa_system_sgpr_workgroup_info 0
		.amdhsa_system_vgpr_workitem_id 0
		.amdhsa_next_free_vgpr 16
		.amdhsa_next_free_sgpr 17
		.amdhsa_reserve_vcc 1
		.amdhsa_reserve_flat_scratch 0
		.amdhsa_float_round_mode_32 0
		.amdhsa_float_round_mode_16_64 0
		.amdhsa_float_denorm_mode_32 3
		.amdhsa_float_denorm_mode_16_64 3
		.amdhsa_dx10_clamp 1
		.amdhsa_ieee_mode 1
		.amdhsa_fp16_overflow 0
		.amdhsa_exception_fp_ieee_invalid_op 0
		.amdhsa_exception_fp_denorm_src 0
		.amdhsa_exception_fp_ieee_div_zero 0
		.amdhsa_exception_fp_ieee_overflow 0
		.amdhsa_exception_fp_ieee_underflow 0
		.amdhsa_exception_fp_ieee_inexact 0
		.amdhsa_exception_int_div_zero 0
	.end_amdhsa_kernel
	.section	.text._ZN9rocsparseL20coo2dense_aos_kernelILj512Ei21rocsparse_complex_numIfEEEvT0_S3_ll21rocsparse_index_base_PKT1_PKS3_PS5_16rocsparse_order_,"axG",@progbits,_ZN9rocsparseL20coo2dense_aos_kernelILj512Ei21rocsparse_complex_numIfEEEvT0_S3_ll21rocsparse_index_base_PKT1_PKS3_PS5_16rocsparse_order_,comdat
.Lfunc_end3:
	.size	_ZN9rocsparseL20coo2dense_aos_kernelILj512Ei21rocsparse_complex_numIfEEEvT0_S3_ll21rocsparse_index_base_PKT1_PKS3_PS5_16rocsparse_order_, .Lfunc_end3-_ZN9rocsparseL20coo2dense_aos_kernelILj512Ei21rocsparse_complex_numIfEEEvT0_S3_ll21rocsparse_index_base_PKT1_PKS3_PS5_16rocsparse_order_
                                        ; -- End function
	.set _ZN9rocsparseL20coo2dense_aos_kernelILj512Ei21rocsparse_complex_numIfEEEvT0_S3_ll21rocsparse_index_base_PKT1_PKS3_PS5_16rocsparse_order_.num_vgpr, 16
	.set _ZN9rocsparseL20coo2dense_aos_kernelILj512Ei21rocsparse_complex_numIfEEEvT0_S3_ll21rocsparse_index_base_PKT1_PKS3_PS5_16rocsparse_order_.num_agpr, 0
	.set _ZN9rocsparseL20coo2dense_aos_kernelILj512Ei21rocsparse_complex_numIfEEEvT0_S3_ll21rocsparse_index_base_PKT1_PKS3_PS5_16rocsparse_order_.numbered_sgpr, 17
	.set _ZN9rocsparseL20coo2dense_aos_kernelILj512Ei21rocsparse_complex_numIfEEEvT0_S3_ll21rocsparse_index_base_PKT1_PKS3_PS5_16rocsparse_order_.num_named_barrier, 0
	.set _ZN9rocsparseL20coo2dense_aos_kernelILj512Ei21rocsparse_complex_numIfEEEvT0_S3_ll21rocsparse_index_base_PKT1_PKS3_PS5_16rocsparse_order_.private_seg_size, 0
	.set _ZN9rocsparseL20coo2dense_aos_kernelILj512Ei21rocsparse_complex_numIfEEEvT0_S3_ll21rocsparse_index_base_PKT1_PKS3_PS5_16rocsparse_order_.uses_vcc, 1
	.set _ZN9rocsparseL20coo2dense_aos_kernelILj512Ei21rocsparse_complex_numIfEEEvT0_S3_ll21rocsparse_index_base_PKT1_PKS3_PS5_16rocsparse_order_.uses_flat_scratch, 0
	.set _ZN9rocsparseL20coo2dense_aos_kernelILj512Ei21rocsparse_complex_numIfEEEvT0_S3_ll21rocsparse_index_base_PKT1_PKS3_PS5_16rocsparse_order_.has_dyn_sized_stack, 0
	.set _ZN9rocsparseL20coo2dense_aos_kernelILj512Ei21rocsparse_complex_numIfEEEvT0_S3_ll21rocsparse_index_base_PKT1_PKS3_PS5_16rocsparse_order_.has_recursion, 0
	.set _ZN9rocsparseL20coo2dense_aos_kernelILj512Ei21rocsparse_complex_numIfEEEvT0_S3_ll21rocsparse_index_base_PKT1_PKS3_PS5_16rocsparse_order_.has_indirect_call, 0
	.section	.AMDGPU.csdata,"",@progbits
; Kernel info:
; codeLenInByte = 364
; TotalNumSgprs: 21
; NumVgprs: 16
; ScratchSize: 0
; MemoryBound: 0
; FloatMode: 240
; IeeeMode: 1
; LDSByteSize: 0 bytes/workgroup (compile time only)
; SGPRBlocks: 2
; VGPRBlocks: 3
; NumSGPRsForWavesPerEU: 21
; NumVGPRsForWavesPerEU: 16
; Occupancy: 10
; WaveLimiterHint : 1
; COMPUTE_PGM_RSRC2:SCRATCH_EN: 0
; COMPUTE_PGM_RSRC2:USER_SGPR: 6
; COMPUTE_PGM_RSRC2:TRAP_HANDLER: 0
; COMPUTE_PGM_RSRC2:TGID_X_EN: 1
; COMPUTE_PGM_RSRC2:TGID_Y_EN: 0
; COMPUTE_PGM_RSRC2:TGID_Z_EN: 0
; COMPUTE_PGM_RSRC2:TIDIG_COMP_CNT: 0
	.section	.text._ZN9rocsparseL20coo2dense_aos_kernelILj512Ei21rocsparse_complex_numIdEEEvT0_S3_ll21rocsparse_index_base_PKT1_PKS3_PS5_16rocsparse_order_,"axG",@progbits,_ZN9rocsparseL20coo2dense_aos_kernelILj512Ei21rocsparse_complex_numIdEEEvT0_S3_ll21rocsparse_index_base_PKT1_PKS3_PS5_16rocsparse_order_,comdat
	.globl	_ZN9rocsparseL20coo2dense_aos_kernelILj512Ei21rocsparse_complex_numIdEEEvT0_S3_ll21rocsparse_index_base_PKT1_PKS3_PS5_16rocsparse_order_ ; -- Begin function _ZN9rocsparseL20coo2dense_aos_kernelILj512Ei21rocsparse_complex_numIdEEEvT0_S3_ll21rocsparse_index_base_PKT1_PKS3_PS5_16rocsparse_order_
	.p2align	8
	.type	_ZN9rocsparseL20coo2dense_aos_kernelILj512Ei21rocsparse_complex_numIdEEEvT0_S3_ll21rocsparse_index_base_PKT1_PKS3_PS5_16rocsparse_order_,@function
_ZN9rocsparseL20coo2dense_aos_kernelILj512Ei21rocsparse_complex_numIdEEEvT0_S3_ll21rocsparse_index_base_PKT1_PKS3_PS5_16rocsparse_order_: ; @_ZN9rocsparseL20coo2dense_aos_kernelILj512Ei21rocsparse_complex_numIdEEEvT0_S3_ll21rocsparse_index_base_PKT1_PKS3_PS5_16rocsparse_order_
; %bb.0:
	s_load_dwordx4 s[8:11], s[4:5], 0x8
	v_lshl_or_b32 v1, s6, 9, v0
	v_mov_b32_e32 v2, 0
	s_waitcnt lgkmcnt(0)
	v_cmp_gt_i64_e32 vcc, s[8:9], v[1:2]
	s_and_saveexec_b64 s[0:1], vcc
	s_cbranch_execz .LBB4_3
; %bb.1:
	s_load_dwordx2 s[2:3], s[4:5], 0x30
	s_load_dword s0, s[4:5], 0x40
	s_load_dword s1, s[4:5], 0x38
	;; [unrolled: 1-line block ×3, first 2 shown]
	s_load_dwordx4 s[12:15], s[4:5], 0x20
	v_mov_b32_e32 v6, v2
	v_lshlrev_b32_e32 v0, 1, v0
	s_waitcnt lgkmcnt(0)
	s_lshl_b32 s16, s0, 9
	s_cmp_eq_u32 s1, 1
	v_mov_b32_e32 v5, v1
	s_cselect_b64 vcc, -1, 0
	v_add_u32_e32 v3, s16, v1
	v_lshl_or_b32 v1, s6, 10, v0
	s_lshl_b32 s6, s0, 10
	s_mov_b64 s[4:5], 0
	v_mov_b32_e32 v0, s15
	v_mov_b32_e32 v7, s13
	;; [unrolled: 1-line block ×3, first 2 shown]
.LBB4_2:                                ; =>This Inner Loop Header: Depth=1
	v_lshlrev_b64 v[9:10], 2, v[1:2]
	v_lshlrev_b64 v[4:5], 4, v[5:6]
	v_add_co_u32_e64 v9, s[0:1], s14, v9
	v_addc_co_u32_e64 v10, s[0:1], v0, v10, s[0:1]
	global_load_dwordx2 v[13:14], v[9:10], off
	v_add_co_u32_e64 v4, s[0:1], s12, v4
	v_addc_co_u32_e64 v5, s[0:1], v7, v5, s[0:1]
	global_load_dwordx4 v[9:12], v[4:5], off
	v_mov_b32_e32 v4, v2
	v_mov_b32_e32 v6, v4
	;; [unrolled: 1-line block ×3, first 2 shown]
	v_cmp_le_u64_e64 s[0:1], s[8:9], v[3:4]
	v_add_u32_e32 v1, s6, v1
	s_or_b64 s[4:5], s[0:1], s[4:5]
	v_add_u32_e32 v3, s16, v3
	s_waitcnt vmcnt(1)
	v_subrev_u32_e32 v4, s7, v13
	v_subrev_u32_e32 v13, s7, v14
	v_cndmask_b32_e32 v14, v4, v13, vcc
	v_cndmask_b32_e32 v13, v13, v4, vcc
	v_ashrrev_i32_e32 v4, 31, v14
	v_mul_lo_u32 v17, s11, v14
	v_mad_u64_u32 v[15:16], s[0:1], s10, v14, 0
	v_mul_lo_u32 v4, s10, v4
	v_ashrrev_i32_e32 v14, 31, v13
	v_lshlrev_b64 v[13:14], 4, v[13:14]
	v_add3_u32 v16, v16, v4, v17
	v_lshlrev_b64 v[15:16], 4, v[15:16]
	v_add_co_u32_e64 v4, s[0:1], s2, v15
	v_addc_co_u32_e64 v15, s[0:1], v8, v16, s[0:1]
	v_add_co_u32_e64 v13, s[0:1], v4, v13
	v_addc_co_u32_e64 v14, s[0:1], v15, v14, s[0:1]
	s_waitcnt vmcnt(0)
	global_store_dwordx4 v[13:14], v[9:12], off
	s_andn2_b64 exec, exec, s[4:5]
	s_cbranch_execnz .LBB4_2
.LBB4_3:
	s_endpgm
	.section	.rodata,"a",@progbits
	.p2align	6, 0x0
	.amdhsa_kernel _ZN9rocsparseL20coo2dense_aos_kernelILj512Ei21rocsparse_complex_numIdEEEvT0_S3_ll21rocsparse_index_base_PKT1_PKS3_PS5_16rocsparse_order_
		.amdhsa_group_segment_fixed_size 0
		.amdhsa_private_segment_fixed_size 0
		.amdhsa_kernarg_size 320
		.amdhsa_user_sgpr_count 6
		.amdhsa_user_sgpr_private_segment_buffer 1
		.amdhsa_user_sgpr_dispatch_ptr 0
		.amdhsa_user_sgpr_queue_ptr 0
		.amdhsa_user_sgpr_kernarg_segment_ptr 1
		.amdhsa_user_sgpr_dispatch_id 0
		.amdhsa_user_sgpr_flat_scratch_init 0
		.amdhsa_user_sgpr_private_segment_size 0
		.amdhsa_uses_dynamic_stack 0
		.amdhsa_system_sgpr_private_segment_wavefront_offset 0
		.amdhsa_system_sgpr_workgroup_id_x 1
		.amdhsa_system_sgpr_workgroup_id_y 0
		.amdhsa_system_sgpr_workgroup_id_z 0
		.amdhsa_system_sgpr_workgroup_info 0
		.amdhsa_system_vgpr_workitem_id 0
		.amdhsa_next_free_vgpr 18
		.amdhsa_next_free_sgpr 17
		.amdhsa_reserve_vcc 1
		.amdhsa_reserve_flat_scratch 0
		.amdhsa_float_round_mode_32 0
		.amdhsa_float_round_mode_16_64 0
		.amdhsa_float_denorm_mode_32 3
		.amdhsa_float_denorm_mode_16_64 3
		.amdhsa_dx10_clamp 1
		.amdhsa_ieee_mode 1
		.amdhsa_fp16_overflow 0
		.amdhsa_exception_fp_ieee_invalid_op 0
		.amdhsa_exception_fp_denorm_src 0
		.amdhsa_exception_fp_ieee_div_zero 0
		.amdhsa_exception_fp_ieee_overflow 0
		.amdhsa_exception_fp_ieee_underflow 0
		.amdhsa_exception_fp_ieee_inexact 0
		.amdhsa_exception_int_div_zero 0
	.end_amdhsa_kernel
	.section	.text._ZN9rocsparseL20coo2dense_aos_kernelILj512Ei21rocsparse_complex_numIdEEEvT0_S3_ll21rocsparse_index_base_PKT1_PKS3_PS5_16rocsparse_order_,"axG",@progbits,_ZN9rocsparseL20coo2dense_aos_kernelILj512Ei21rocsparse_complex_numIdEEEvT0_S3_ll21rocsparse_index_base_PKT1_PKS3_PS5_16rocsparse_order_,comdat
.Lfunc_end4:
	.size	_ZN9rocsparseL20coo2dense_aos_kernelILj512Ei21rocsparse_complex_numIdEEEvT0_S3_ll21rocsparse_index_base_PKT1_PKS3_PS5_16rocsparse_order_, .Lfunc_end4-_ZN9rocsparseL20coo2dense_aos_kernelILj512Ei21rocsparse_complex_numIdEEEvT0_S3_ll21rocsparse_index_base_PKT1_PKS3_PS5_16rocsparse_order_
                                        ; -- End function
	.set _ZN9rocsparseL20coo2dense_aos_kernelILj512Ei21rocsparse_complex_numIdEEEvT0_S3_ll21rocsparse_index_base_PKT1_PKS3_PS5_16rocsparse_order_.num_vgpr, 18
	.set _ZN9rocsparseL20coo2dense_aos_kernelILj512Ei21rocsparse_complex_numIdEEEvT0_S3_ll21rocsparse_index_base_PKT1_PKS3_PS5_16rocsparse_order_.num_agpr, 0
	.set _ZN9rocsparseL20coo2dense_aos_kernelILj512Ei21rocsparse_complex_numIdEEEvT0_S3_ll21rocsparse_index_base_PKT1_PKS3_PS5_16rocsparse_order_.numbered_sgpr, 17
	.set _ZN9rocsparseL20coo2dense_aos_kernelILj512Ei21rocsparse_complex_numIdEEEvT0_S3_ll21rocsparse_index_base_PKT1_PKS3_PS5_16rocsparse_order_.num_named_barrier, 0
	.set _ZN9rocsparseL20coo2dense_aos_kernelILj512Ei21rocsparse_complex_numIdEEEvT0_S3_ll21rocsparse_index_base_PKT1_PKS3_PS5_16rocsparse_order_.private_seg_size, 0
	.set _ZN9rocsparseL20coo2dense_aos_kernelILj512Ei21rocsparse_complex_numIdEEEvT0_S3_ll21rocsparse_index_base_PKT1_PKS3_PS5_16rocsparse_order_.uses_vcc, 1
	.set _ZN9rocsparseL20coo2dense_aos_kernelILj512Ei21rocsparse_complex_numIdEEEvT0_S3_ll21rocsparse_index_base_PKT1_PKS3_PS5_16rocsparse_order_.uses_flat_scratch, 0
	.set _ZN9rocsparseL20coo2dense_aos_kernelILj512Ei21rocsparse_complex_numIdEEEvT0_S3_ll21rocsparse_index_base_PKT1_PKS3_PS5_16rocsparse_order_.has_dyn_sized_stack, 0
	.set _ZN9rocsparseL20coo2dense_aos_kernelILj512Ei21rocsparse_complex_numIdEEEvT0_S3_ll21rocsparse_index_base_PKT1_PKS3_PS5_16rocsparse_order_.has_recursion, 0
	.set _ZN9rocsparseL20coo2dense_aos_kernelILj512Ei21rocsparse_complex_numIdEEEvT0_S3_ll21rocsparse_index_base_PKT1_PKS3_PS5_16rocsparse_order_.has_indirect_call, 0
	.section	.AMDGPU.csdata,"",@progbits
; Kernel info:
; codeLenInByte = 364
; TotalNumSgprs: 21
; NumVgprs: 18
; ScratchSize: 0
; MemoryBound: 0
; FloatMode: 240
; IeeeMode: 1
; LDSByteSize: 0 bytes/workgroup (compile time only)
; SGPRBlocks: 2
; VGPRBlocks: 4
; NumSGPRsForWavesPerEU: 21
; NumVGPRsForWavesPerEU: 18
; Occupancy: 10
; WaveLimiterHint : 1
; COMPUTE_PGM_RSRC2:SCRATCH_EN: 0
; COMPUTE_PGM_RSRC2:USER_SGPR: 6
; COMPUTE_PGM_RSRC2:TRAP_HANDLER: 0
; COMPUTE_PGM_RSRC2:TGID_X_EN: 1
; COMPUTE_PGM_RSRC2:TGID_Y_EN: 0
; COMPUTE_PGM_RSRC2:TGID_Z_EN: 0
; COMPUTE_PGM_RSRC2:TIDIG_COMP_CNT: 0
	.section	.text._ZN9rocsparseL20coo2dense_aos_kernelILj512ElDF16_EEvT0_S1_ll21rocsparse_index_base_PKT1_PKS1_PS3_16rocsparse_order_,"axG",@progbits,_ZN9rocsparseL20coo2dense_aos_kernelILj512ElDF16_EEvT0_S1_ll21rocsparse_index_base_PKT1_PKS1_PS3_16rocsparse_order_,comdat
	.globl	_ZN9rocsparseL20coo2dense_aos_kernelILj512ElDF16_EEvT0_S1_ll21rocsparse_index_base_PKT1_PKS1_PS3_16rocsparse_order_ ; -- Begin function _ZN9rocsparseL20coo2dense_aos_kernelILj512ElDF16_EEvT0_S1_ll21rocsparse_index_base_PKT1_PKS1_PS3_16rocsparse_order_
	.p2align	8
	.type	_ZN9rocsparseL20coo2dense_aos_kernelILj512ElDF16_EEvT0_S1_ll21rocsparse_index_base_PKT1_PKS1_PS3_16rocsparse_order_,@function
_ZN9rocsparseL20coo2dense_aos_kernelILj512ElDF16_EEvT0_S1_ll21rocsparse_index_base_PKT1_PKS1_PS3_16rocsparse_order_: ; @_ZN9rocsparseL20coo2dense_aos_kernelILj512ElDF16_EEvT0_S1_ll21rocsparse_index_base_PKT1_PKS1_PS3_16rocsparse_order_
; %bb.0:
	s_load_dwordx4 s[8:11], s[4:5], 0x10
	v_lshl_or_b32 v1, s6, 9, v0
	v_mov_b32_e32 v2, 0
	s_waitcnt lgkmcnt(0)
	v_cmp_gt_i64_e32 vcc, s[8:9], v[1:2]
	s_and_saveexec_b64 s[0:1], vcc
	s_cbranch_execz .LBB5_3
; %bb.1:
	s_load_dwordx2 s[2:3], s[4:5], 0x38
	s_load_dword s0, s[4:5], 0x48
	s_load_dword s1, s[4:5], 0x40
	;; [unrolled: 1-line block ×3, first 2 shown]
	s_load_dwordx4 s[12:15], s[4:5], 0x28
	v_mov_b32_e32 v6, v2
	v_lshlrev_b32_e32 v0, 1, v0
	s_waitcnt lgkmcnt(0)
	s_lshl_b32 s16, s0, 9
	s_cmp_eq_u32 s1, 1
	v_mov_b32_e32 v5, v1
	s_cselect_b64 vcc, -1, 0
	v_add_u32_e32 v3, s16, v1
	v_lshl_or_b32 v1, s6, 10, v0
	s_lshl_b32 s6, s0, 10
	s_mov_b64 s[4:5], 0
	v_mov_b32_e32 v0, s15
	v_mov_b32_e32 v7, s13
	;; [unrolled: 1-line block ×3, first 2 shown]
.LBB5_2:                                ; =>This Inner Loop Header: Depth=1
	v_lshlrev_b64 v[9:10], 3, v[1:2]
	v_lshlrev_b64 v[4:5], 1, v[5:6]
	v_add_co_u32_e64 v9, s[0:1], s14, v9
	v_addc_co_u32_e64 v10, s[0:1], v0, v10, s[0:1]
	global_load_dwordx4 v[9:12], v[9:10], off
	v_add_co_u32_e64 v4, s[0:1], s12, v4
	v_addc_co_u32_e64 v5, s[0:1], v7, v5, s[0:1]
	global_load_ushort v13, v[4:5], off
	v_mov_b32_e32 v4, v2
	v_cmp_le_u64_e64 s[0:1], s[8:9], v[3:4]
	v_mov_b32_e32 v6, v4
	v_mov_b32_e32 v5, v3
	s_or_b64 s[4:5], s[0:1], s[4:5]
	v_add_u32_e32 v1, s6, v1
	v_add_u32_e32 v3, s16, v3
	s_waitcnt vmcnt(1)
	v_subrev_co_u32_e64 v4, s[0:1], s7, v9
	v_subbrev_co_u32_e64 v9, s[0:1], 0, v10, s[0:1]
	v_subrev_co_u32_e64 v11, s[0:1], s7, v11
	v_subbrev_co_u32_e64 v10, s[0:1], 0, v12, s[0:1]
	v_cndmask_b32_e32 v12, v4, v11, vcc
	v_cndmask_b32_e32 v14, v9, v10, vcc
	;; [unrolled: 1-line block ×4, first 2 shown]
	v_mul_lo_u32 v4, v14, s10
	v_mul_lo_u32 v14, v12, s11
	v_mad_u64_u32 v[11:12], s[0:1], v12, s10, 0
	v_lshlrev_b64 v[9:10], 1, v[9:10]
	v_add3_u32 v12, v12, v14, v4
	v_lshlrev_b64 v[11:12], 1, v[11:12]
	v_add_co_u32_e64 v4, s[0:1], s2, v11
	v_addc_co_u32_e64 v11, s[0:1], v8, v12, s[0:1]
	v_add_co_u32_e64 v9, s[0:1], v4, v9
	v_addc_co_u32_e64 v10, s[0:1], v11, v10, s[0:1]
	s_waitcnt vmcnt(0)
	global_store_short v[9:10], v13, off
	s_andn2_b64 exec, exec, s[4:5]
	s_cbranch_execnz .LBB5_2
.LBB5_3:
	s_endpgm
	.section	.rodata,"a",@progbits
	.p2align	6, 0x0
	.amdhsa_kernel _ZN9rocsparseL20coo2dense_aos_kernelILj512ElDF16_EEvT0_S1_ll21rocsparse_index_base_PKT1_PKS1_PS3_16rocsparse_order_
		.amdhsa_group_segment_fixed_size 0
		.amdhsa_private_segment_fixed_size 0
		.amdhsa_kernarg_size 328
		.amdhsa_user_sgpr_count 6
		.amdhsa_user_sgpr_private_segment_buffer 1
		.amdhsa_user_sgpr_dispatch_ptr 0
		.amdhsa_user_sgpr_queue_ptr 0
		.amdhsa_user_sgpr_kernarg_segment_ptr 1
		.amdhsa_user_sgpr_dispatch_id 0
		.amdhsa_user_sgpr_flat_scratch_init 0
		.amdhsa_user_sgpr_private_segment_size 0
		.amdhsa_uses_dynamic_stack 0
		.amdhsa_system_sgpr_private_segment_wavefront_offset 0
		.amdhsa_system_sgpr_workgroup_id_x 1
		.amdhsa_system_sgpr_workgroup_id_y 0
		.amdhsa_system_sgpr_workgroup_id_z 0
		.amdhsa_system_sgpr_workgroup_info 0
		.amdhsa_system_vgpr_workitem_id 0
		.amdhsa_next_free_vgpr 15
		.amdhsa_next_free_sgpr 17
		.amdhsa_reserve_vcc 1
		.amdhsa_reserve_flat_scratch 0
		.amdhsa_float_round_mode_32 0
		.amdhsa_float_round_mode_16_64 0
		.amdhsa_float_denorm_mode_32 3
		.amdhsa_float_denorm_mode_16_64 3
		.amdhsa_dx10_clamp 1
		.amdhsa_ieee_mode 1
		.amdhsa_fp16_overflow 0
		.amdhsa_exception_fp_ieee_invalid_op 0
		.amdhsa_exception_fp_denorm_src 0
		.amdhsa_exception_fp_ieee_div_zero 0
		.amdhsa_exception_fp_ieee_overflow 0
		.amdhsa_exception_fp_ieee_underflow 0
		.amdhsa_exception_fp_ieee_inexact 0
		.amdhsa_exception_int_div_zero 0
	.end_amdhsa_kernel
	.section	.text._ZN9rocsparseL20coo2dense_aos_kernelILj512ElDF16_EEvT0_S1_ll21rocsparse_index_base_PKT1_PKS1_PS3_16rocsparse_order_,"axG",@progbits,_ZN9rocsparseL20coo2dense_aos_kernelILj512ElDF16_EEvT0_S1_ll21rocsparse_index_base_PKT1_PKS1_PS3_16rocsparse_order_,comdat
.Lfunc_end5:
	.size	_ZN9rocsparseL20coo2dense_aos_kernelILj512ElDF16_EEvT0_S1_ll21rocsparse_index_base_PKT1_PKS1_PS3_16rocsparse_order_, .Lfunc_end5-_ZN9rocsparseL20coo2dense_aos_kernelILj512ElDF16_EEvT0_S1_ll21rocsparse_index_base_PKT1_PKS1_PS3_16rocsparse_order_
                                        ; -- End function
	.set _ZN9rocsparseL20coo2dense_aos_kernelILj512ElDF16_EEvT0_S1_ll21rocsparse_index_base_PKT1_PKS1_PS3_16rocsparse_order_.num_vgpr, 15
	.set _ZN9rocsparseL20coo2dense_aos_kernelILj512ElDF16_EEvT0_S1_ll21rocsparse_index_base_PKT1_PKS1_PS3_16rocsparse_order_.num_agpr, 0
	.set _ZN9rocsparseL20coo2dense_aos_kernelILj512ElDF16_EEvT0_S1_ll21rocsparse_index_base_PKT1_PKS1_PS3_16rocsparse_order_.numbered_sgpr, 17
	.set _ZN9rocsparseL20coo2dense_aos_kernelILj512ElDF16_EEvT0_S1_ll21rocsparse_index_base_PKT1_PKS1_PS3_16rocsparse_order_.num_named_barrier, 0
	.set _ZN9rocsparseL20coo2dense_aos_kernelILj512ElDF16_EEvT0_S1_ll21rocsparse_index_base_PKT1_PKS1_PS3_16rocsparse_order_.private_seg_size, 0
	.set _ZN9rocsparseL20coo2dense_aos_kernelILj512ElDF16_EEvT0_S1_ll21rocsparse_index_base_PKT1_PKS1_PS3_16rocsparse_order_.uses_vcc, 1
	.set _ZN9rocsparseL20coo2dense_aos_kernelILj512ElDF16_EEvT0_S1_ll21rocsparse_index_base_PKT1_PKS1_PS3_16rocsparse_order_.uses_flat_scratch, 0
	.set _ZN9rocsparseL20coo2dense_aos_kernelILj512ElDF16_EEvT0_S1_ll21rocsparse_index_base_PKT1_PKS1_PS3_16rocsparse_order_.has_dyn_sized_stack, 0
	.set _ZN9rocsparseL20coo2dense_aos_kernelILj512ElDF16_EEvT0_S1_ll21rocsparse_index_base_PKT1_PKS1_PS3_16rocsparse_order_.has_recursion, 0
	.set _ZN9rocsparseL20coo2dense_aos_kernelILj512ElDF16_EEvT0_S1_ll21rocsparse_index_base_PKT1_PKS1_PS3_16rocsparse_order_.has_indirect_call, 0
	.section	.AMDGPU.csdata,"",@progbits
; Kernel info:
; codeLenInByte = 388
; TotalNumSgprs: 21
; NumVgprs: 15
; ScratchSize: 0
; MemoryBound: 0
; FloatMode: 240
; IeeeMode: 1
; LDSByteSize: 0 bytes/workgroup (compile time only)
; SGPRBlocks: 2
; VGPRBlocks: 3
; NumSGPRsForWavesPerEU: 21
; NumVGPRsForWavesPerEU: 15
; Occupancy: 10
; WaveLimiterHint : 1
; COMPUTE_PGM_RSRC2:SCRATCH_EN: 0
; COMPUTE_PGM_RSRC2:USER_SGPR: 6
; COMPUTE_PGM_RSRC2:TRAP_HANDLER: 0
; COMPUTE_PGM_RSRC2:TGID_X_EN: 1
; COMPUTE_PGM_RSRC2:TGID_Y_EN: 0
; COMPUTE_PGM_RSRC2:TGID_Z_EN: 0
; COMPUTE_PGM_RSRC2:TIDIG_COMP_CNT: 0
	.section	.text._ZN9rocsparseL20coo2dense_aos_kernelILj512ElfEEvT0_S1_ll21rocsparse_index_base_PKT1_PKS1_PS3_16rocsparse_order_,"axG",@progbits,_ZN9rocsparseL20coo2dense_aos_kernelILj512ElfEEvT0_S1_ll21rocsparse_index_base_PKT1_PKS1_PS3_16rocsparse_order_,comdat
	.globl	_ZN9rocsparseL20coo2dense_aos_kernelILj512ElfEEvT0_S1_ll21rocsparse_index_base_PKT1_PKS1_PS3_16rocsparse_order_ ; -- Begin function _ZN9rocsparseL20coo2dense_aos_kernelILj512ElfEEvT0_S1_ll21rocsparse_index_base_PKT1_PKS1_PS3_16rocsparse_order_
	.p2align	8
	.type	_ZN9rocsparseL20coo2dense_aos_kernelILj512ElfEEvT0_S1_ll21rocsparse_index_base_PKT1_PKS1_PS3_16rocsparse_order_,@function
_ZN9rocsparseL20coo2dense_aos_kernelILj512ElfEEvT0_S1_ll21rocsparse_index_base_PKT1_PKS1_PS3_16rocsparse_order_: ; @_ZN9rocsparseL20coo2dense_aos_kernelILj512ElfEEvT0_S1_ll21rocsparse_index_base_PKT1_PKS1_PS3_16rocsparse_order_
; %bb.0:
	s_load_dwordx4 s[8:11], s[4:5], 0x10
	v_lshl_or_b32 v1, s6, 9, v0
	v_mov_b32_e32 v2, 0
	s_waitcnt lgkmcnt(0)
	v_cmp_gt_i64_e32 vcc, s[8:9], v[1:2]
	s_and_saveexec_b64 s[0:1], vcc
	s_cbranch_execz .LBB6_3
; %bb.1:
	s_load_dwordx2 s[2:3], s[4:5], 0x38
	s_load_dword s0, s[4:5], 0x48
	s_load_dword s1, s[4:5], 0x40
	;; [unrolled: 1-line block ×3, first 2 shown]
	s_load_dwordx4 s[12:15], s[4:5], 0x28
	v_mov_b32_e32 v6, v2
	v_lshlrev_b32_e32 v0, 1, v0
	s_waitcnt lgkmcnt(0)
	s_lshl_b32 s16, s0, 9
	s_cmp_eq_u32 s1, 1
	v_mov_b32_e32 v5, v1
	s_cselect_b64 vcc, -1, 0
	v_add_u32_e32 v3, s16, v1
	v_lshl_or_b32 v1, s6, 10, v0
	s_lshl_b32 s6, s0, 10
	s_mov_b64 s[4:5], 0
	v_mov_b32_e32 v0, s15
	v_mov_b32_e32 v7, s13
	;; [unrolled: 1-line block ×3, first 2 shown]
.LBB6_2:                                ; =>This Inner Loop Header: Depth=1
	v_lshlrev_b64 v[9:10], 3, v[1:2]
	v_lshlrev_b64 v[4:5], 2, v[5:6]
	v_add_co_u32_e64 v9, s[0:1], s14, v9
	v_addc_co_u32_e64 v10, s[0:1], v0, v10, s[0:1]
	global_load_dwordx4 v[9:12], v[9:10], off
	v_add_co_u32_e64 v4, s[0:1], s12, v4
	v_addc_co_u32_e64 v5, s[0:1], v7, v5, s[0:1]
	global_load_dword v13, v[4:5], off
	v_mov_b32_e32 v4, v2
	v_cmp_le_u64_e64 s[0:1], s[8:9], v[3:4]
	v_mov_b32_e32 v6, v4
	v_mov_b32_e32 v5, v3
	s_or_b64 s[4:5], s[0:1], s[4:5]
	v_add_u32_e32 v1, s6, v1
	v_add_u32_e32 v3, s16, v3
	s_waitcnt vmcnt(1)
	v_subrev_co_u32_e64 v4, s[0:1], s7, v9
	v_subbrev_co_u32_e64 v9, s[0:1], 0, v10, s[0:1]
	v_subrev_co_u32_e64 v11, s[0:1], s7, v11
	v_subbrev_co_u32_e64 v10, s[0:1], 0, v12, s[0:1]
	v_cndmask_b32_e32 v12, v4, v11, vcc
	v_cndmask_b32_e32 v14, v9, v10, vcc
	;; [unrolled: 1-line block ×4, first 2 shown]
	v_mul_lo_u32 v4, v14, s10
	v_mul_lo_u32 v14, v12, s11
	v_mad_u64_u32 v[11:12], s[0:1], v12, s10, 0
	v_lshlrev_b64 v[9:10], 2, v[9:10]
	v_add3_u32 v12, v12, v14, v4
	v_lshlrev_b64 v[11:12], 2, v[11:12]
	v_add_co_u32_e64 v4, s[0:1], s2, v11
	v_addc_co_u32_e64 v11, s[0:1], v8, v12, s[0:1]
	v_add_co_u32_e64 v9, s[0:1], v4, v9
	v_addc_co_u32_e64 v10, s[0:1], v11, v10, s[0:1]
	s_waitcnt vmcnt(0)
	global_store_dword v[9:10], v13, off
	s_andn2_b64 exec, exec, s[4:5]
	s_cbranch_execnz .LBB6_2
.LBB6_3:
	s_endpgm
	.section	.rodata,"a",@progbits
	.p2align	6, 0x0
	.amdhsa_kernel _ZN9rocsparseL20coo2dense_aos_kernelILj512ElfEEvT0_S1_ll21rocsparse_index_base_PKT1_PKS1_PS3_16rocsparse_order_
		.amdhsa_group_segment_fixed_size 0
		.amdhsa_private_segment_fixed_size 0
		.amdhsa_kernarg_size 328
		.amdhsa_user_sgpr_count 6
		.amdhsa_user_sgpr_private_segment_buffer 1
		.amdhsa_user_sgpr_dispatch_ptr 0
		.amdhsa_user_sgpr_queue_ptr 0
		.amdhsa_user_sgpr_kernarg_segment_ptr 1
		.amdhsa_user_sgpr_dispatch_id 0
		.amdhsa_user_sgpr_flat_scratch_init 0
		.amdhsa_user_sgpr_private_segment_size 0
		.amdhsa_uses_dynamic_stack 0
		.amdhsa_system_sgpr_private_segment_wavefront_offset 0
		.amdhsa_system_sgpr_workgroup_id_x 1
		.amdhsa_system_sgpr_workgroup_id_y 0
		.amdhsa_system_sgpr_workgroup_id_z 0
		.amdhsa_system_sgpr_workgroup_info 0
		.amdhsa_system_vgpr_workitem_id 0
		.amdhsa_next_free_vgpr 15
		.amdhsa_next_free_sgpr 17
		.amdhsa_reserve_vcc 1
		.amdhsa_reserve_flat_scratch 0
		.amdhsa_float_round_mode_32 0
		.amdhsa_float_round_mode_16_64 0
		.amdhsa_float_denorm_mode_32 3
		.amdhsa_float_denorm_mode_16_64 3
		.amdhsa_dx10_clamp 1
		.amdhsa_ieee_mode 1
		.amdhsa_fp16_overflow 0
		.amdhsa_exception_fp_ieee_invalid_op 0
		.amdhsa_exception_fp_denorm_src 0
		.amdhsa_exception_fp_ieee_div_zero 0
		.amdhsa_exception_fp_ieee_overflow 0
		.amdhsa_exception_fp_ieee_underflow 0
		.amdhsa_exception_fp_ieee_inexact 0
		.amdhsa_exception_int_div_zero 0
	.end_amdhsa_kernel
	.section	.text._ZN9rocsparseL20coo2dense_aos_kernelILj512ElfEEvT0_S1_ll21rocsparse_index_base_PKT1_PKS1_PS3_16rocsparse_order_,"axG",@progbits,_ZN9rocsparseL20coo2dense_aos_kernelILj512ElfEEvT0_S1_ll21rocsparse_index_base_PKT1_PKS1_PS3_16rocsparse_order_,comdat
.Lfunc_end6:
	.size	_ZN9rocsparseL20coo2dense_aos_kernelILj512ElfEEvT0_S1_ll21rocsparse_index_base_PKT1_PKS1_PS3_16rocsparse_order_, .Lfunc_end6-_ZN9rocsparseL20coo2dense_aos_kernelILj512ElfEEvT0_S1_ll21rocsparse_index_base_PKT1_PKS1_PS3_16rocsparse_order_
                                        ; -- End function
	.set _ZN9rocsparseL20coo2dense_aos_kernelILj512ElfEEvT0_S1_ll21rocsparse_index_base_PKT1_PKS1_PS3_16rocsparse_order_.num_vgpr, 15
	.set _ZN9rocsparseL20coo2dense_aos_kernelILj512ElfEEvT0_S1_ll21rocsparse_index_base_PKT1_PKS1_PS3_16rocsparse_order_.num_agpr, 0
	.set _ZN9rocsparseL20coo2dense_aos_kernelILj512ElfEEvT0_S1_ll21rocsparse_index_base_PKT1_PKS1_PS3_16rocsparse_order_.numbered_sgpr, 17
	.set _ZN9rocsparseL20coo2dense_aos_kernelILj512ElfEEvT0_S1_ll21rocsparse_index_base_PKT1_PKS1_PS3_16rocsparse_order_.num_named_barrier, 0
	.set _ZN9rocsparseL20coo2dense_aos_kernelILj512ElfEEvT0_S1_ll21rocsparse_index_base_PKT1_PKS1_PS3_16rocsparse_order_.private_seg_size, 0
	.set _ZN9rocsparseL20coo2dense_aos_kernelILj512ElfEEvT0_S1_ll21rocsparse_index_base_PKT1_PKS1_PS3_16rocsparse_order_.uses_vcc, 1
	.set _ZN9rocsparseL20coo2dense_aos_kernelILj512ElfEEvT0_S1_ll21rocsparse_index_base_PKT1_PKS1_PS3_16rocsparse_order_.uses_flat_scratch, 0
	.set _ZN9rocsparseL20coo2dense_aos_kernelILj512ElfEEvT0_S1_ll21rocsparse_index_base_PKT1_PKS1_PS3_16rocsparse_order_.has_dyn_sized_stack, 0
	.set _ZN9rocsparseL20coo2dense_aos_kernelILj512ElfEEvT0_S1_ll21rocsparse_index_base_PKT1_PKS1_PS3_16rocsparse_order_.has_recursion, 0
	.set _ZN9rocsparseL20coo2dense_aos_kernelILj512ElfEEvT0_S1_ll21rocsparse_index_base_PKT1_PKS1_PS3_16rocsparse_order_.has_indirect_call, 0
	.section	.AMDGPU.csdata,"",@progbits
; Kernel info:
; codeLenInByte = 388
; TotalNumSgprs: 21
; NumVgprs: 15
; ScratchSize: 0
; MemoryBound: 0
; FloatMode: 240
; IeeeMode: 1
; LDSByteSize: 0 bytes/workgroup (compile time only)
; SGPRBlocks: 2
; VGPRBlocks: 3
; NumSGPRsForWavesPerEU: 21
; NumVGPRsForWavesPerEU: 15
; Occupancy: 10
; WaveLimiterHint : 1
; COMPUTE_PGM_RSRC2:SCRATCH_EN: 0
; COMPUTE_PGM_RSRC2:USER_SGPR: 6
; COMPUTE_PGM_RSRC2:TRAP_HANDLER: 0
; COMPUTE_PGM_RSRC2:TGID_X_EN: 1
; COMPUTE_PGM_RSRC2:TGID_Y_EN: 0
; COMPUTE_PGM_RSRC2:TGID_Z_EN: 0
; COMPUTE_PGM_RSRC2:TIDIG_COMP_CNT: 0
	.section	.text._ZN9rocsparseL20coo2dense_aos_kernelILj512EldEEvT0_S1_ll21rocsparse_index_base_PKT1_PKS1_PS3_16rocsparse_order_,"axG",@progbits,_ZN9rocsparseL20coo2dense_aos_kernelILj512EldEEvT0_S1_ll21rocsparse_index_base_PKT1_PKS1_PS3_16rocsparse_order_,comdat
	.globl	_ZN9rocsparseL20coo2dense_aos_kernelILj512EldEEvT0_S1_ll21rocsparse_index_base_PKT1_PKS1_PS3_16rocsparse_order_ ; -- Begin function _ZN9rocsparseL20coo2dense_aos_kernelILj512EldEEvT0_S1_ll21rocsparse_index_base_PKT1_PKS1_PS3_16rocsparse_order_
	.p2align	8
	.type	_ZN9rocsparseL20coo2dense_aos_kernelILj512EldEEvT0_S1_ll21rocsparse_index_base_PKT1_PKS1_PS3_16rocsparse_order_,@function
_ZN9rocsparseL20coo2dense_aos_kernelILj512EldEEvT0_S1_ll21rocsparse_index_base_PKT1_PKS1_PS3_16rocsparse_order_: ; @_ZN9rocsparseL20coo2dense_aos_kernelILj512EldEEvT0_S1_ll21rocsparse_index_base_PKT1_PKS1_PS3_16rocsparse_order_
; %bb.0:
	s_load_dwordx4 s[8:11], s[4:5], 0x10
	v_lshl_or_b32 v1, s6, 9, v0
	v_mov_b32_e32 v2, 0
	s_waitcnt lgkmcnt(0)
	v_cmp_gt_i64_e32 vcc, s[8:9], v[1:2]
	s_and_saveexec_b64 s[0:1], vcc
	s_cbranch_execz .LBB7_3
; %bb.1:
	s_load_dwordx2 s[2:3], s[4:5], 0x38
	s_load_dword s0, s[4:5], 0x48
	s_load_dword s1, s[4:5], 0x40
	;; [unrolled: 1-line block ×3, first 2 shown]
	s_load_dwordx4 s[12:15], s[4:5], 0x28
	v_mov_b32_e32 v6, v2
	v_lshlrev_b32_e32 v0, 1, v0
	s_waitcnt lgkmcnt(0)
	s_lshl_b32 s16, s0, 9
	s_cmp_eq_u32 s1, 1
	v_mov_b32_e32 v5, v1
	s_cselect_b64 vcc, -1, 0
	v_add_u32_e32 v3, s16, v1
	v_lshl_or_b32 v1, s6, 10, v0
	s_lshl_b32 s6, s0, 10
	s_mov_b64 s[4:5], 0
	v_mov_b32_e32 v0, s15
	v_mov_b32_e32 v7, s13
	;; [unrolled: 1-line block ×3, first 2 shown]
.LBB7_2:                                ; =>This Inner Loop Header: Depth=1
	v_lshlrev_b64 v[9:10], 3, v[1:2]
	v_lshlrev_b64 v[4:5], 3, v[5:6]
	v_add_co_u32_e64 v9, s[0:1], s14, v9
	v_addc_co_u32_e64 v10, s[0:1], v0, v10, s[0:1]
	global_load_dwordx4 v[9:12], v[9:10], off
	v_add_co_u32_e64 v4, s[0:1], s12, v4
	v_addc_co_u32_e64 v5, s[0:1], v7, v5, s[0:1]
	global_load_dwordx2 v[13:14], v[4:5], off
	v_mov_b32_e32 v4, v2
	v_cmp_le_u64_e64 s[0:1], s[8:9], v[3:4]
	v_mov_b32_e32 v6, v4
	v_mov_b32_e32 v5, v3
	s_or_b64 s[4:5], s[0:1], s[4:5]
	v_add_u32_e32 v1, s6, v1
	v_add_u32_e32 v3, s16, v3
	s_waitcnt vmcnt(1)
	v_subrev_co_u32_e64 v4, s[0:1], s7, v9
	v_subbrev_co_u32_e64 v9, s[0:1], 0, v10, s[0:1]
	v_subrev_co_u32_e64 v11, s[0:1], s7, v11
	v_subbrev_co_u32_e64 v10, s[0:1], 0, v12, s[0:1]
	v_cndmask_b32_e32 v12, v4, v11, vcc
	v_cndmask_b32_e32 v15, v9, v10, vcc
	;; [unrolled: 1-line block ×4, first 2 shown]
	v_mul_lo_u32 v4, v15, s10
	v_mul_lo_u32 v15, v12, s11
	v_mad_u64_u32 v[11:12], s[0:1], v12, s10, 0
	v_lshlrev_b64 v[9:10], 3, v[9:10]
	v_add3_u32 v12, v12, v15, v4
	v_lshlrev_b64 v[11:12], 3, v[11:12]
	v_add_co_u32_e64 v4, s[0:1], s2, v11
	v_addc_co_u32_e64 v11, s[0:1], v8, v12, s[0:1]
	v_add_co_u32_e64 v9, s[0:1], v4, v9
	v_addc_co_u32_e64 v10, s[0:1], v11, v10, s[0:1]
	s_waitcnt vmcnt(0)
	global_store_dwordx2 v[9:10], v[13:14], off
	s_andn2_b64 exec, exec, s[4:5]
	s_cbranch_execnz .LBB7_2
.LBB7_3:
	s_endpgm
	.section	.rodata,"a",@progbits
	.p2align	6, 0x0
	.amdhsa_kernel _ZN9rocsparseL20coo2dense_aos_kernelILj512EldEEvT0_S1_ll21rocsparse_index_base_PKT1_PKS1_PS3_16rocsparse_order_
		.amdhsa_group_segment_fixed_size 0
		.amdhsa_private_segment_fixed_size 0
		.amdhsa_kernarg_size 328
		.amdhsa_user_sgpr_count 6
		.amdhsa_user_sgpr_private_segment_buffer 1
		.amdhsa_user_sgpr_dispatch_ptr 0
		.amdhsa_user_sgpr_queue_ptr 0
		.amdhsa_user_sgpr_kernarg_segment_ptr 1
		.amdhsa_user_sgpr_dispatch_id 0
		.amdhsa_user_sgpr_flat_scratch_init 0
		.amdhsa_user_sgpr_private_segment_size 0
		.amdhsa_uses_dynamic_stack 0
		.amdhsa_system_sgpr_private_segment_wavefront_offset 0
		.amdhsa_system_sgpr_workgroup_id_x 1
		.amdhsa_system_sgpr_workgroup_id_y 0
		.amdhsa_system_sgpr_workgroup_id_z 0
		.amdhsa_system_sgpr_workgroup_info 0
		.amdhsa_system_vgpr_workitem_id 0
		.amdhsa_next_free_vgpr 16
		.amdhsa_next_free_sgpr 17
		.amdhsa_reserve_vcc 1
		.amdhsa_reserve_flat_scratch 0
		.amdhsa_float_round_mode_32 0
		.amdhsa_float_round_mode_16_64 0
		.amdhsa_float_denorm_mode_32 3
		.amdhsa_float_denorm_mode_16_64 3
		.amdhsa_dx10_clamp 1
		.amdhsa_ieee_mode 1
		.amdhsa_fp16_overflow 0
		.amdhsa_exception_fp_ieee_invalid_op 0
		.amdhsa_exception_fp_denorm_src 0
		.amdhsa_exception_fp_ieee_div_zero 0
		.amdhsa_exception_fp_ieee_overflow 0
		.amdhsa_exception_fp_ieee_underflow 0
		.amdhsa_exception_fp_ieee_inexact 0
		.amdhsa_exception_int_div_zero 0
	.end_amdhsa_kernel
	.section	.text._ZN9rocsparseL20coo2dense_aos_kernelILj512EldEEvT0_S1_ll21rocsparse_index_base_PKT1_PKS1_PS3_16rocsparse_order_,"axG",@progbits,_ZN9rocsparseL20coo2dense_aos_kernelILj512EldEEvT0_S1_ll21rocsparse_index_base_PKT1_PKS1_PS3_16rocsparse_order_,comdat
.Lfunc_end7:
	.size	_ZN9rocsparseL20coo2dense_aos_kernelILj512EldEEvT0_S1_ll21rocsparse_index_base_PKT1_PKS1_PS3_16rocsparse_order_, .Lfunc_end7-_ZN9rocsparseL20coo2dense_aos_kernelILj512EldEEvT0_S1_ll21rocsparse_index_base_PKT1_PKS1_PS3_16rocsparse_order_
                                        ; -- End function
	.set _ZN9rocsparseL20coo2dense_aos_kernelILj512EldEEvT0_S1_ll21rocsparse_index_base_PKT1_PKS1_PS3_16rocsparse_order_.num_vgpr, 16
	.set _ZN9rocsparseL20coo2dense_aos_kernelILj512EldEEvT0_S1_ll21rocsparse_index_base_PKT1_PKS1_PS3_16rocsparse_order_.num_agpr, 0
	.set _ZN9rocsparseL20coo2dense_aos_kernelILj512EldEEvT0_S1_ll21rocsparse_index_base_PKT1_PKS1_PS3_16rocsparse_order_.numbered_sgpr, 17
	.set _ZN9rocsparseL20coo2dense_aos_kernelILj512EldEEvT0_S1_ll21rocsparse_index_base_PKT1_PKS1_PS3_16rocsparse_order_.num_named_barrier, 0
	.set _ZN9rocsparseL20coo2dense_aos_kernelILj512EldEEvT0_S1_ll21rocsparse_index_base_PKT1_PKS1_PS3_16rocsparse_order_.private_seg_size, 0
	.set _ZN9rocsparseL20coo2dense_aos_kernelILj512EldEEvT0_S1_ll21rocsparse_index_base_PKT1_PKS1_PS3_16rocsparse_order_.uses_vcc, 1
	.set _ZN9rocsparseL20coo2dense_aos_kernelILj512EldEEvT0_S1_ll21rocsparse_index_base_PKT1_PKS1_PS3_16rocsparse_order_.uses_flat_scratch, 0
	.set _ZN9rocsparseL20coo2dense_aos_kernelILj512EldEEvT0_S1_ll21rocsparse_index_base_PKT1_PKS1_PS3_16rocsparse_order_.has_dyn_sized_stack, 0
	.set _ZN9rocsparseL20coo2dense_aos_kernelILj512EldEEvT0_S1_ll21rocsparse_index_base_PKT1_PKS1_PS3_16rocsparse_order_.has_recursion, 0
	.set _ZN9rocsparseL20coo2dense_aos_kernelILj512EldEEvT0_S1_ll21rocsparse_index_base_PKT1_PKS1_PS3_16rocsparse_order_.has_indirect_call, 0
	.section	.AMDGPU.csdata,"",@progbits
; Kernel info:
; codeLenInByte = 388
; TotalNumSgprs: 21
; NumVgprs: 16
; ScratchSize: 0
; MemoryBound: 0
; FloatMode: 240
; IeeeMode: 1
; LDSByteSize: 0 bytes/workgroup (compile time only)
; SGPRBlocks: 2
; VGPRBlocks: 3
; NumSGPRsForWavesPerEU: 21
; NumVGPRsForWavesPerEU: 16
; Occupancy: 10
; WaveLimiterHint : 1
; COMPUTE_PGM_RSRC2:SCRATCH_EN: 0
; COMPUTE_PGM_RSRC2:USER_SGPR: 6
; COMPUTE_PGM_RSRC2:TRAP_HANDLER: 0
; COMPUTE_PGM_RSRC2:TGID_X_EN: 1
; COMPUTE_PGM_RSRC2:TGID_Y_EN: 0
; COMPUTE_PGM_RSRC2:TGID_Z_EN: 0
; COMPUTE_PGM_RSRC2:TIDIG_COMP_CNT: 0
	.section	.text._ZN9rocsparseL20coo2dense_aos_kernelILj512El21rocsparse_complex_numIfEEEvT0_S3_ll21rocsparse_index_base_PKT1_PKS3_PS5_16rocsparse_order_,"axG",@progbits,_ZN9rocsparseL20coo2dense_aos_kernelILj512El21rocsparse_complex_numIfEEEvT0_S3_ll21rocsparse_index_base_PKT1_PKS3_PS5_16rocsparse_order_,comdat
	.globl	_ZN9rocsparseL20coo2dense_aos_kernelILj512El21rocsparse_complex_numIfEEEvT0_S3_ll21rocsparse_index_base_PKT1_PKS3_PS5_16rocsparse_order_ ; -- Begin function _ZN9rocsparseL20coo2dense_aos_kernelILj512El21rocsparse_complex_numIfEEEvT0_S3_ll21rocsparse_index_base_PKT1_PKS3_PS5_16rocsparse_order_
	.p2align	8
	.type	_ZN9rocsparseL20coo2dense_aos_kernelILj512El21rocsparse_complex_numIfEEEvT0_S3_ll21rocsparse_index_base_PKT1_PKS3_PS5_16rocsparse_order_,@function
_ZN9rocsparseL20coo2dense_aos_kernelILj512El21rocsparse_complex_numIfEEEvT0_S3_ll21rocsparse_index_base_PKT1_PKS3_PS5_16rocsparse_order_: ; @_ZN9rocsparseL20coo2dense_aos_kernelILj512El21rocsparse_complex_numIfEEEvT0_S3_ll21rocsparse_index_base_PKT1_PKS3_PS5_16rocsparse_order_
; %bb.0:
	s_load_dwordx4 s[8:11], s[4:5], 0x10
	v_lshl_or_b32 v1, s6, 9, v0
	v_mov_b32_e32 v2, 0
	s_waitcnt lgkmcnt(0)
	v_cmp_gt_i64_e32 vcc, s[8:9], v[1:2]
	s_and_saveexec_b64 s[0:1], vcc
	s_cbranch_execz .LBB8_3
; %bb.1:
	s_load_dwordx2 s[2:3], s[4:5], 0x38
	s_load_dword s0, s[4:5], 0x48
	s_load_dword s1, s[4:5], 0x40
	s_load_dword s7, s[4:5], 0x20
	s_load_dwordx4 s[12:15], s[4:5], 0x28
	v_mov_b32_e32 v6, v2
	v_lshlrev_b32_e32 v0, 1, v0
	s_waitcnt lgkmcnt(0)
	s_lshl_b32 s16, s0, 9
	s_cmp_eq_u32 s1, 1
	v_mov_b32_e32 v5, v1
	s_cselect_b64 vcc, -1, 0
	v_add_u32_e32 v3, s16, v1
	v_lshl_or_b32 v1, s6, 10, v0
	s_lshl_b32 s6, s0, 10
	s_mov_b64 s[4:5], 0
	v_mov_b32_e32 v0, s15
	v_mov_b32_e32 v7, s13
	v_mov_b32_e32 v8, s3
.LBB8_2:                                ; =>This Inner Loop Header: Depth=1
	v_lshlrev_b64 v[9:10], 3, v[1:2]
	v_lshlrev_b64 v[4:5], 3, v[5:6]
	v_add_co_u32_e64 v9, s[0:1], s14, v9
	v_addc_co_u32_e64 v10, s[0:1], v0, v10, s[0:1]
	global_load_dwordx4 v[9:12], v[9:10], off
	v_add_co_u32_e64 v4, s[0:1], s12, v4
	v_addc_co_u32_e64 v5, s[0:1], v7, v5, s[0:1]
	global_load_dwordx2 v[13:14], v[4:5], off
	v_mov_b32_e32 v4, v2
	v_cmp_le_u64_e64 s[0:1], s[8:9], v[3:4]
	v_mov_b32_e32 v6, v4
	v_mov_b32_e32 v5, v3
	s_or_b64 s[4:5], s[0:1], s[4:5]
	v_add_u32_e32 v1, s6, v1
	v_add_u32_e32 v3, s16, v3
	s_waitcnt vmcnt(1)
	v_subrev_co_u32_e64 v4, s[0:1], s7, v9
	v_subbrev_co_u32_e64 v9, s[0:1], 0, v10, s[0:1]
	v_subrev_co_u32_e64 v11, s[0:1], s7, v11
	v_subbrev_co_u32_e64 v10, s[0:1], 0, v12, s[0:1]
	v_cndmask_b32_e32 v12, v4, v11, vcc
	v_cndmask_b32_e32 v15, v9, v10, vcc
	;; [unrolled: 1-line block ×4, first 2 shown]
	v_mul_lo_u32 v4, v15, s10
	v_mul_lo_u32 v15, v12, s11
	v_mad_u64_u32 v[11:12], s[0:1], v12, s10, 0
	v_lshlrev_b64 v[9:10], 3, v[9:10]
	v_add3_u32 v12, v12, v15, v4
	v_lshlrev_b64 v[11:12], 3, v[11:12]
	v_add_co_u32_e64 v4, s[0:1], s2, v11
	v_addc_co_u32_e64 v11, s[0:1], v8, v12, s[0:1]
	v_add_co_u32_e64 v9, s[0:1], v4, v9
	v_addc_co_u32_e64 v10, s[0:1], v11, v10, s[0:1]
	s_waitcnt vmcnt(0)
	global_store_dwordx2 v[9:10], v[13:14], off
	s_andn2_b64 exec, exec, s[4:5]
	s_cbranch_execnz .LBB8_2
.LBB8_3:
	s_endpgm
	.section	.rodata,"a",@progbits
	.p2align	6, 0x0
	.amdhsa_kernel _ZN9rocsparseL20coo2dense_aos_kernelILj512El21rocsparse_complex_numIfEEEvT0_S3_ll21rocsparse_index_base_PKT1_PKS3_PS5_16rocsparse_order_
		.amdhsa_group_segment_fixed_size 0
		.amdhsa_private_segment_fixed_size 0
		.amdhsa_kernarg_size 328
		.amdhsa_user_sgpr_count 6
		.amdhsa_user_sgpr_private_segment_buffer 1
		.amdhsa_user_sgpr_dispatch_ptr 0
		.amdhsa_user_sgpr_queue_ptr 0
		.amdhsa_user_sgpr_kernarg_segment_ptr 1
		.amdhsa_user_sgpr_dispatch_id 0
		.amdhsa_user_sgpr_flat_scratch_init 0
		.amdhsa_user_sgpr_private_segment_size 0
		.amdhsa_uses_dynamic_stack 0
		.amdhsa_system_sgpr_private_segment_wavefront_offset 0
		.amdhsa_system_sgpr_workgroup_id_x 1
		.amdhsa_system_sgpr_workgroup_id_y 0
		.amdhsa_system_sgpr_workgroup_id_z 0
		.amdhsa_system_sgpr_workgroup_info 0
		.amdhsa_system_vgpr_workitem_id 0
		.amdhsa_next_free_vgpr 16
		.amdhsa_next_free_sgpr 17
		.amdhsa_reserve_vcc 1
		.amdhsa_reserve_flat_scratch 0
		.amdhsa_float_round_mode_32 0
		.amdhsa_float_round_mode_16_64 0
		.amdhsa_float_denorm_mode_32 3
		.amdhsa_float_denorm_mode_16_64 3
		.amdhsa_dx10_clamp 1
		.amdhsa_ieee_mode 1
		.amdhsa_fp16_overflow 0
		.amdhsa_exception_fp_ieee_invalid_op 0
		.amdhsa_exception_fp_denorm_src 0
		.amdhsa_exception_fp_ieee_div_zero 0
		.amdhsa_exception_fp_ieee_overflow 0
		.amdhsa_exception_fp_ieee_underflow 0
		.amdhsa_exception_fp_ieee_inexact 0
		.amdhsa_exception_int_div_zero 0
	.end_amdhsa_kernel
	.section	.text._ZN9rocsparseL20coo2dense_aos_kernelILj512El21rocsparse_complex_numIfEEEvT0_S3_ll21rocsparse_index_base_PKT1_PKS3_PS5_16rocsparse_order_,"axG",@progbits,_ZN9rocsparseL20coo2dense_aos_kernelILj512El21rocsparse_complex_numIfEEEvT0_S3_ll21rocsparse_index_base_PKT1_PKS3_PS5_16rocsparse_order_,comdat
.Lfunc_end8:
	.size	_ZN9rocsparseL20coo2dense_aos_kernelILj512El21rocsparse_complex_numIfEEEvT0_S3_ll21rocsparse_index_base_PKT1_PKS3_PS5_16rocsparse_order_, .Lfunc_end8-_ZN9rocsparseL20coo2dense_aos_kernelILj512El21rocsparse_complex_numIfEEEvT0_S3_ll21rocsparse_index_base_PKT1_PKS3_PS5_16rocsparse_order_
                                        ; -- End function
	.set _ZN9rocsparseL20coo2dense_aos_kernelILj512El21rocsparse_complex_numIfEEEvT0_S3_ll21rocsparse_index_base_PKT1_PKS3_PS5_16rocsparse_order_.num_vgpr, 16
	.set _ZN9rocsparseL20coo2dense_aos_kernelILj512El21rocsparse_complex_numIfEEEvT0_S3_ll21rocsparse_index_base_PKT1_PKS3_PS5_16rocsparse_order_.num_agpr, 0
	.set _ZN9rocsparseL20coo2dense_aos_kernelILj512El21rocsparse_complex_numIfEEEvT0_S3_ll21rocsparse_index_base_PKT1_PKS3_PS5_16rocsparse_order_.numbered_sgpr, 17
	.set _ZN9rocsparseL20coo2dense_aos_kernelILj512El21rocsparse_complex_numIfEEEvT0_S3_ll21rocsparse_index_base_PKT1_PKS3_PS5_16rocsparse_order_.num_named_barrier, 0
	.set _ZN9rocsparseL20coo2dense_aos_kernelILj512El21rocsparse_complex_numIfEEEvT0_S3_ll21rocsparse_index_base_PKT1_PKS3_PS5_16rocsparse_order_.private_seg_size, 0
	.set _ZN9rocsparseL20coo2dense_aos_kernelILj512El21rocsparse_complex_numIfEEEvT0_S3_ll21rocsparse_index_base_PKT1_PKS3_PS5_16rocsparse_order_.uses_vcc, 1
	.set _ZN9rocsparseL20coo2dense_aos_kernelILj512El21rocsparse_complex_numIfEEEvT0_S3_ll21rocsparse_index_base_PKT1_PKS3_PS5_16rocsparse_order_.uses_flat_scratch, 0
	.set _ZN9rocsparseL20coo2dense_aos_kernelILj512El21rocsparse_complex_numIfEEEvT0_S3_ll21rocsparse_index_base_PKT1_PKS3_PS5_16rocsparse_order_.has_dyn_sized_stack, 0
	.set _ZN9rocsparseL20coo2dense_aos_kernelILj512El21rocsparse_complex_numIfEEEvT0_S3_ll21rocsparse_index_base_PKT1_PKS3_PS5_16rocsparse_order_.has_recursion, 0
	.set _ZN9rocsparseL20coo2dense_aos_kernelILj512El21rocsparse_complex_numIfEEEvT0_S3_ll21rocsparse_index_base_PKT1_PKS3_PS5_16rocsparse_order_.has_indirect_call, 0
	.section	.AMDGPU.csdata,"",@progbits
; Kernel info:
; codeLenInByte = 388
; TotalNumSgprs: 21
; NumVgprs: 16
; ScratchSize: 0
; MemoryBound: 0
; FloatMode: 240
; IeeeMode: 1
; LDSByteSize: 0 bytes/workgroup (compile time only)
; SGPRBlocks: 2
; VGPRBlocks: 3
; NumSGPRsForWavesPerEU: 21
; NumVGPRsForWavesPerEU: 16
; Occupancy: 10
; WaveLimiterHint : 1
; COMPUTE_PGM_RSRC2:SCRATCH_EN: 0
; COMPUTE_PGM_RSRC2:USER_SGPR: 6
; COMPUTE_PGM_RSRC2:TRAP_HANDLER: 0
; COMPUTE_PGM_RSRC2:TGID_X_EN: 1
; COMPUTE_PGM_RSRC2:TGID_Y_EN: 0
; COMPUTE_PGM_RSRC2:TGID_Z_EN: 0
; COMPUTE_PGM_RSRC2:TIDIG_COMP_CNT: 0
	.section	.text._ZN9rocsparseL20coo2dense_aos_kernelILj512El21rocsparse_complex_numIdEEEvT0_S3_ll21rocsparse_index_base_PKT1_PKS3_PS5_16rocsparse_order_,"axG",@progbits,_ZN9rocsparseL20coo2dense_aos_kernelILj512El21rocsparse_complex_numIdEEEvT0_S3_ll21rocsparse_index_base_PKT1_PKS3_PS5_16rocsparse_order_,comdat
	.globl	_ZN9rocsparseL20coo2dense_aos_kernelILj512El21rocsparse_complex_numIdEEEvT0_S3_ll21rocsparse_index_base_PKT1_PKS3_PS5_16rocsparse_order_ ; -- Begin function _ZN9rocsparseL20coo2dense_aos_kernelILj512El21rocsparse_complex_numIdEEEvT0_S3_ll21rocsparse_index_base_PKT1_PKS3_PS5_16rocsparse_order_
	.p2align	8
	.type	_ZN9rocsparseL20coo2dense_aos_kernelILj512El21rocsparse_complex_numIdEEEvT0_S3_ll21rocsparse_index_base_PKT1_PKS3_PS5_16rocsparse_order_,@function
_ZN9rocsparseL20coo2dense_aos_kernelILj512El21rocsparse_complex_numIdEEEvT0_S3_ll21rocsparse_index_base_PKT1_PKS3_PS5_16rocsparse_order_: ; @_ZN9rocsparseL20coo2dense_aos_kernelILj512El21rocsparse_complex_numIdEEEvT0_S3_ll21rocsparse_index_base_PKT1_PKS3_PS5_16rocsparse_order_
; %bb.0:
	s_load_dwordx4 s[8:11], s[4:5], 0x10
	v_lshl_or_b32 v1, s6, 9, v0
	v_mov_b32_e32 v2, 0
	s_waitcnt lgkmcnt(0)
	v_cmp_gt_i64_e32 vcc, s[8:9], v[1:2]
	s_and_saveexec_b64 s[0:1], vcc
	s_cbranch_execz .LBB9_3
; %bb.1:
	s_load_dwordx2 s[2:3], s[4:5], 0x38
	s_load_dword s0, s[4:5], 0x48
	s_load_dword s1, s[4:5], 0x40
	;; [unrolled: 1-line block ×3, first 2 shown]
	s_load_dwordx4 s[12:15], s[4:5], 0x28
	v_mov_b32_e32 v6, v2
	v_lshlrev_b32_e32 v0, 1, v0
	s_waitcnt lgkmcnt(0)
	s_lshl_b32 s16, s0, 9
	s_cmp_eq_u32 s1, 1
	v_mov_b32_e32 v5, v1
	s_cselect_b64 vcc, -1, 0
	v_add_u32_e32 v3, s16, v1
	v_lshl_or_b32 v1, s6, 10, v0
	s_lshl_b32 s6, s0, 10
	s_mov_b64 s[4:5], 0
	v_mov_b32_e32 v0, s15
	v_mov_b32_e32 v7, s13
	;; [unrolled: 1-line block ×3, first 2 shown]
.LBB9_2:                                ; =>This Inner Loop Header: Depth=1
	v_lshlrev_b64 v[9:10], 3, v[1:2]
	v_lshlrev_b64 v[4:5], 4, v[5:6]
	v_add_co_u32_e64 v9, s[0:1], s14, v9
	v_addc_co_u32_e64 v10, s[0:1], v0, v10, s[0:1]
	global_load_dwordx4 v[9:12], v[9:10], off
	v_add_co_u32_e64 v4, s[0:1], s12, v4
	v_addc_co_u32_e64 v5, s[0:1], v7, v5, s[0:1]
	global_load_dwordx4 v[13:16], v[4:5], off
	v_mov_b32_e32 v4, v2
	v_cmp_le_u64_e64 s[0:1], s[8:9], v[3:4]
	v_mov_b32_e32 v6, v4
	v_mov_b32_e32 v5, v3
	s_or_b64 s[4:5], s[0:1], s[4:5]
	v_add_u32_e32 v1, s6, v1
	v_add_u32_e32 v3, s16, v3
	s_waitcnt vmcnt(1)
	v_subrev_co_u32_e64 v4, s[0:1], s7, v9
	v_subbrev_co_u32_e64 v9, s[0:1], 0, v10, s[0:1]
	v_subrev_co_u32_e64 v11, s[0:1], s7, v11
	v_subbrev_co_u32_e64 v10, s[0:1], 0, v12, s[0:1]
	v_cndmask_b32_e32 v12, v4, v11, vcc
	v_cndmask_b32_e32 v17, v9, v10, vcc
	;; [unrolled: 1-line block ×4, first 2 shown]
	v_mul_lo_u32 v4, v17, s10
	v_mul_lo_u32 v17, v12, s11
	v_mad_u64_u32 v[11:12], s[0:1], v12, s10, 0
	v_lshlrev_b64 v[9:10], 4, v[9:10]
	v_add3_u32 v12, v12, v17, v4
	v_lshlrev_b64 v[11:12], 4, v[11:12]
	v_add_co_u32_e64 v4, s[0:1], s2, v11
	v_addc_co_u32_e64 v11, s[0:1], v8, v12, s[0:1]
	v_add_co_u32_e64 v9, s[0:1], v4, v9
	v_addc_co_u32_e64 v10, s[0:1], v11, v10, s[0:1]
	s_waitcnt vmcnt(0)
	global_store_dwordx4 v[9:10], v[13:16], off
	s_andn2_b64 exec, exec, s[4:5]
	s_cbranch_execnz .LBB9_2
.LBB9_3:
	s_endpgm
	.section	.rodata,"a",@progbits
	.p2align	6, 0x0
	.amdhsa_kernel _ZN9rocsparseL20coo2dense_aos_kernelILj512El21rocsparse_complex_numIdEEEvT0_S3_ll21rocsparse_index_base_PKT1_PKS3_PS5_16rocsparse_order_
		.amdhsa_group_segment_fixed_size 0
		.amdhsa_private_segment_fixed_size 0
		.amdhsa_kernarg_size 328
		.amdhsa_user_sgpr_count 6
		.amdhsa_user_sgpr_private_segment_buffer 1
		.amdhsa_user_sgpr_dispatch_ptr 0
		.amdhsa_user_sgpr_queue_ptr 0
		.amdhsa_user_sgpr_kernarg_segment_ptr 1
		.amdhsa_user_sgpr_dispatch_id 0
		.amdhsa_user_sgpr_flat_scratch_init 0
		.amdhsa_user_sgpr_private_segment_size 0
		.amdhsa_uses_dynamic_stack 0
		.amdhsa_system_sgpr_private_segment_wavefront_offset 0
		.amdhsa_system_sgpr_workgroup_id_x 1
		.amdhsa_system_sgpr_workgroup_id_y 0
		.amdhsa_system_sgpr_workgroup_id_z 0
		.amdhsa_system_sgpr_workgroup_info 0
		.amdhsa_system_vgpr_workitem_id 0
		.amdhsa_next_free_vgpr 18
		.amdhsa_next_free_sgpr 17
		.amdhsa_reserve_vcc 1
		.amdhsa_reserve_flat_scratch 0
		.amdhsa_float_round_mode_32 0
		.amdhsa_float_round_mode_16_64 0
		.amdhsa_float_denorm_mode_32 3
		.amdhsa_float_denorm_mode_16_64 3
		.amdhsa_dx10_clamp 1
		.amdhsa_ieee_mode 1
		.amdhsa_fp16_overflow 0
		.amdhsa_exception_fp_ieee_invalid_op 0
		.amdhsa_exception_fp_denorm_src 0
		.amdhsa_exception_fp_ieee_div_zero 0
		.amdhsa_exception_fp_ieee_overflow 0
		.amdhsa_exception_fp_ieee_underflow 0
		.amdhsa_exception_fp_ieee_inexact 0
		.amdhsa_exception_int_div_zero 0
	.end_amdhsa_kernel
	.section	.text._ZN9rocsparseL20coo2dense_aos_kernelILj512El21rocsparse_complex_numIdEEEvT0_S3_ll21rocsparse_index_base_PKT1_PKS3_PS5_16rocsparse_order_,"axG",@progbits,_ZN9rocsparseL20coo2dense_aos_kernelILj512El21rocsparse_complex_numIdEEEvT0_S3_ll21rocsparse_index_base_PKT1_PKS3_PS5_16rocsparse_order_,comdat
.Lfunc_end9:
	.size	_ZN9rocsparseL20coo2dense_aos_kernelILj512El21rocsparse_complex_numIdEEEvT0_S3_ll21rocsparse_index_base_PKT1_PKS3_PS5_16rocsparse_order_, .Lfunc_end9-_ZN9rocsparseL20coo2dense_aos_kernelILj512El21rocsparse_complex_numIdEEEvT0_S3_ll21rocsparse_index_base_PKT1_PKS3_PS5_16rocsparse_order_
                                        ; -- End function
	.set _ZN9rocsparseL20coo2dense_aos_kernelILj512El21rocsparse_complex_numIdEEEvT0_S3_ll21rocsparse_index_base_PKT1_PKS3_PS5_16rocsparse_order_.num_vgpr, 18
	.set _ZN9rocsparseL20coo2dense_aos_kernelILj512El21rocsparse_complex_numIdEEEvT0_S3_ll21rocsparse_index_base_PKT1_PKS3_PS5_16rocsparse_order_.num_agpr, 0
	.set _ZN9rocsparseL20coo2dense_aos_kernelILj512El21rocsparse_complex_numIdEEEvT0_S3_ll21rocsparse_index_base_PKT1_PKS3_PS5_16rocsparse_order_.numbered_sgpr, 17
	.set _ZN9rocsparseL20coo2dense_aos_kernelILj512El21rocsparse_complex_numIdEEEvT0_S3_ll21rocsparse_index_base_PKT1_PKS3_PS5_16rocsparse_order_.num_named_barrier, 0
	.set _ZN9rocsparseL20coo2dense_aos_kernelILj512El21rocsparse_complex_numIdEEEvT0_S3_ll21rocsparse_index_base_PKT1_PKS3_PS5_16rocsparse_order_.private_seg_size, 0
	.set _ZN9rocsparseL20coo2dense_aos_kernelILj512El21rocsparse_complex_numIdEEEvT0_S3_ll21rocsparse_index_base_PKT1_PKS3_PS5_16rocsparse_order_.uses_vcc, 1
	.set _ZN9rocsparseL20coo2dense_aos_kernelILj512El21rocsparse_complex_numIdEEEvT0_S3_ll21rocsparse_index_base_PKT1_PKS3_PS5_16rocsparse_order_.uses_flat_scratch, 0
	.set _ZN9rocsparseL20coo2dense_aos_kernelILj512El21rocsparse_complex_numIdEEEvT0_S3_ll21rocsparse_index_base_PKT1_PKS3_PS5_16rocsparse_order_.has_dyn_sized_stack, 0
	.set _ZN9rocsparseL20coo2dense_aos_kernelILj512El21rocsparse_complex_numIdEEEvT0_S3_ll21rocsparse_index_base_PKT1_PKS3_PS5_16rocsparse_order_.has_recursion, 0
	.set _ZN9rocsparseL20coo2dense_aos_kernelILj512El21rocsparse_complex_numIdEEEvT0_S3_ll21rocsparse_index_base_PKT1_PKS3_PS5_16rocsparse_order_.has_indirect_call, 0
	.section	.AMDGPU.csdata,"",@progbits
; Kernel info:
; codeLenInByte = 388
; TotalNumSgprs: 21
; NumVgprs: 18
; ScratchSize: 0
; MemoryBound: 0
; FloatMode: 240
; IeeeMode: 1
; LDSByteSize: 0 bytes/workgroup (compile time only)
; SGPRBlocks: 2
; VGPRBlocks: 4
; NumSGPRsForWavesPerEU: 21
; NumVGPRsForWavesPerEU: 18
; Occupancy: 10
; WaveLimiterHint : 1
; COMPUTE_PGM_RSRC2:SCRATCH_EN: 0
; COMPUTE_PGM_RSRC2:USER_SGPR: 6
; COMPUTE_PGM_RSRC2:TRAP_HANDLER: 0
; COMPUTE_PGM_RSRC2:TGID_X_EN: 1
; COMPUTE_PGM_RSRC2:TGID_Y_EN: 0
; COMPUTE_PGM_RSRC2:TGID_Z_EN: 0
; COMPUTE_PGM_RSRC2:TIDIG_COMP_CNT: 0
	.section	.AMDGPU.gpr_maximums,"",@progbits
	.set amdgpu.max_num_vgpr, 0
	.set amdgpu.max_num_agpr, 0
	.set amdgpu.max_num_sgpr, 0
	.section	.AMDGPU.csdata,"",@progbits
	.type	__hip_cuid_112c7edb5f240850,@object ; @__hip_cuid_112c7edb5f240850
	.section	.bss,"aw",@nobits
	.globl	__hip_cuid_112c7edb5f240850
__hip_cuid_112c7edb5f240850:
	.byte	0                               ; 0x0
	.size	__hip_cuid_112c7edb5f240850, 1

	.ident	"AMD clang version 22.0.0git (https://github.com/RadeonOpenCompute/llvm-project roc-7.2.4 26084 f58b06dce1f9c15707c5f808fd002e18c2accf7e)"
	.section	".note.GNU-stack","",@progbits
	.addrsig
	.addrsig_sym __hip_cuid_112c7edb5f240850
	.amdgpu_metadata
---
amdhsa.kernels:
  - .args:
      - .offset:         0
        .size:           4
        .value_kind:     by_value
      - .offset:         4
        .size:           4
        .value_kind:     by_value
      - .offset:         8
        .size:           8
        .value_kind:     by_value
      - .offset:         16
        .size:           8
        .value_kind:     by_value
      - .offset:         24
        .size:           4
        .value_kind:     by_value
      - .address_space:  global
        .offset:         32
        .size:           8
        .value_kind:     global_buffer
      - .address_space:  global
        .offset:         40
        .size:           8
        .value_kind:     global_buffer
      - .address_space:  global
        .offset:         48
        .size:           8
        .value_kind:     global_buffer
      - .offset:         56
        .size:           4
        .value_kind:     by_value
      - .offset:         64
        .size:           4
        .value_kind:     hidden_block_count_x
      - .offset:         68
        .size:           4
        .value_kind:     hidden_block_count_y
      - .offset:         72
        .size:           4
        .value_kind:     hidden_block_count_z
      - .offset:         76
        .size:           2
        .value_kind:     hidden_group_size_x
      - .offset:         78
        .size:           2
        .value_kind:     hidden_group_size_y
      - .offset:         80
        .size:           2
        .value_kind:     hidden_group_size_z
      - .offset:         82
        .size:           2
        .value_kind:     hidden_remainder_x
      - .offset:         84
        .size:           2
        .value_kind:     hidden_remainder_y
      - .offset:         86
        .size:           2
        .value_kind:     hidden_remainder_z
      - .offset:         104
        .size:           8
        .value_kind:     hidden_global_offset_x
      - .offset:         112
        .size:           8
        .value_kind:     hidden_global_offset_y
      - .offset:         120
        .size:           8
        .value_kind:     hidden_global_offset_z
      - .offset:         128
        .size:           2
        .value_kind:     hidden_grid_dims
    .group_segment_fixed_size: 0
    .kernarg_segment_align: 8
    .kernarg_segment_size: 320
    .language:       OpenCL C
    .language_version:
      - 2
      - 0
    .max_flat_workgroup_size: 512
    .name:           _ZN9rocsparseL20coo2dense_aos_kernelILj512EiDF16_EEvT0_S1_ll21rocsparse_index_base_PKT1_PKS1_PS3_16rocsparse_order_
    .private_segment_fixed_size: 0
    .sgpr_count:     21
    .sgpr_spill_count: 0
    .symbol:         _ZN9rocsparseL20coo2dense_aos_kernelILj512EiDF16_EEvT0_S1_ll21rocsparse_index_base_PKT1_PKS1_PS3_16rocsparse_order_.kd
    .uniform_work_group_size: 1
    .uses_dynamic_stack: false
    .vgpr_count:     15
    .vgpr_spill_count: 0
    .wavefront_size: 64
  - .args:
      - .offset:         0
        .size:           4
        .value_kind:     by_value
      - .offset:         4
        .size:           4
        .value_kind:     by_value
      - .offset:         8
        .size:           8
        .value_kind:     by_value
      - .offset:         16
        .size:           8
        .value_kind:     by_value
      - .offset:         24
        .size:           4
        .value_kind:     by_value
      - .address_space:  global
        .offset:         32
        .size:           8
        .value_kind:     global_buffer
      - .address_space:  global
        .offset:         40
        .size:           8
        .value_kind:     global_buffer
      - .address_space:  global
        .offset:         48
        .size:           8
        .value_kind:     global_buffer
      - .offset:         56
        .size:           4
        .value_kind:     by_value
      - .offset:         64
        .size:           4
        .value_kind:     hidden_block_count_x
      - .offset:         68
        .size:           4
        .value_kind:     hidden_block_count_y
      - .offset:         72
        .size:           4
        .value_kind:     hidden_block_count_z
      - .offset:         76
        .size:           2
        .value_kind:     hidden_group_size_x
      - .offset:         78
        .size:           2
        .value_kind:     hidden_group_size_y
      - .offset:         80
        .size:           2
        .value_kind:     hidden_group_size_z
      - .offset:         82
        .size:           2
        .value_kind:     hidden_remainder_x
      - .offset:         84
        .size:           2
        .value_kind:     hidden_remainder_y
      - .offset:         86
        .size:           2
        .value_kind:     hidden_remainder_z
      - .offset:         104
        .size:           8
        .value_kind:     hidden_global_offset_x
      - .offset:         112
        .size:           8
        .value_kind:     hidden_global_offset_y
      - .offset:         120
        .size:           8
        .value_kind:     hidden_global_offset_z
      - .offset:         128
        .size:           2
        .value_kind:     hidden_grid_dims
    .group_segment_fixed_size: 0
    .kernarg_segment_align: 8
    .kernarg_segment_size: 320
    .language:       OpenCL C
    .language_version:
      - 2
      - 0
    .max_flat_workgroup_size: 512
    .name:           _ZN9rocsparseL20coo2dense_aos_kernelILj512EifEEvT0_S1_ll21rocsparse_index_base_PKT1_PKS1_PS3_16rocsparse_order_
    .private_segment_fixed_size: 0
    .sgpr_count:     21
    .sgpr_spill_count: 0
    .symbol:         _ZN9rocsparseL20coo2dense_aos_kernelILj512EifEEvT0_S1_ll21rocsparse_index_base_PKT1_PKS1_PS3_16rocsparse_order_.kd
    .uniform_work_group_size: 1
    .uses_dynamic_stack: false
    .vgpr_count:     15
    .vgpr_spill_count: 0
    .wavefront_size: 64
  - .args:
      - .offset:         0
        .size:           4
        .value_kind:     by_value
      - .offset:         4
        .size:           4
        .value_kind:     by_value
      - .offset:         8
        .size:           8
        .value_kind:     by_value
      - .offset:         16
        .size:           8
        .value_kind:     by_value
      - .offset:         24
        .size:           4
        .value_kind:     by_value
      - .address_space:  global
        .offset:         32
        .size:           8
        .value_kind:     global_buffer
      - .address_space:  global
        .offset:         40
        .size:           8
        .value_kind:     global_buffer
      - .address_space:  global
        .offset:         48
        .size:           8
        .value_kind:     global_buffer
      - .offset:         56
        .size:           4
        .value_kind:     by_value
      - .offset:         64
        .size:           4
        .value_kind:     hidden_block_count_x
      - .offset:         68
        .size:           4
        .value_kind:     hidden_block_count_y
      - .offset:         72
        .size:           4
        .value_kind:     hidden_block_count_z
      - .offset:         76
        .size:           2
        .value_kind:     hidden_group_size_x
      - .offset:         78
        .size:           2
        .value_kind:     hidden_group_size_y
      - .offset:         80
        .size:           2
        .value_kind:     hidden_group_size_z
      - .offset:         82
        .size:           2
        .value_kind:     hidden_remainder_x
      - .offset:         84
        .size:           2
        .value_kind:     hidden_remainder_y
      - .offset:         86
        .size:           2
        .value_kind:     hidden_remainder_z
      - .offset:         104
        .size:           8
        .value_kind:     hidden_global_offset_x
      - .offset:         112
        .size:           8
        .value_kind:     hidden_global_offset_y
      - .offset:         120
        .size:           8
        .value_kind:     hidden_global_offset_z
      - .offset:         128
        .size:           2
        .value_kind:     hidden_grid_dims
    .group_segment_fixed_size: 0
    .kernarg_segment_align: 8
    .kernarg_segment_size: 320
    .language:       OpenCL C
    .language_version:
      - 2
      - 0
    .max_flat_workgroup_size: 512
    .name:           _ZN9rocsparseL20coo2dense_aos_kernelILj512EidEEvT0_S1_ll21rocsparse_index_base_PKT1_PKS1_PS3_16rocsparse_order_
    .private_segment_fixed_size: 0
    .sgpr_count:     21
    .sgpr_spill_count: 0
    .symbol:         _ZN9rocsparseL20coo2dense_aos_kernelILj512EidEEvT0_S1_ll21rocsparse_index_base_PKT1_PKS1_PS3_16rocsparse_order_.kd
    .uniform_work_group_size: 1
    .uses_dynamic_stack: false
    .vgpr_count:     16
    .vgpr_spill_count: 0
    .wavefront_size: 64
  - .args:
      - .offset:         0
        .size:           4
        .value_kind:     by_value
      - .offset:         4
        .size:           4
        .value_kind:     by_value
      - .offset:         8
        .size:           8
        .value_kind:     by_value
      - .offset:         16
        .size:           8
        .value_kind:     by_value
      - .offset:         24
        .size:           4
        .value_kind:     by_value
      - .address_space:  global
        .offset:         32
        .size:           8
        .value_kind:     global_buffer
      - .address_space:  global
        .offset:         40
        .size:           8
        .value_kind:     global_buffer
      - .address_space:  global
        .offset:         48
        .size:           8
        .value_kind:     global_buffer
      - .offset:         56
        .size:           4
        .value_kind:     by_value
      - .offset:         64
        .size:           4
        .value_kind:     hidden_block_count_x
      - .offset:         68
        .size:           4
        .value_kind:     hidden_block_count_y
      - .offset:         72
        .size:           4
        .value_kind:     hidden_block_count_z
      - .offset:         76
        .size:           2
        .value_kind:     hidden_group_size_x
      - .offset:         78
        .size:           2
        .value_kind:     hidden_group_size_y
      - .offset:         80
        .size:           2
        .value_kind:     hidden_group_size_z
      - .offset:         82
        .size:           2
        .value_kind:     hidden_remainder_x
      - .offset:         84
        .size:           2
        .value_kind:     hidden_remainder_y
      - .offset:         86
        .size:           2
        .value_kind:     hidden_remainder_z
      - .offset:         104
        .size:           8
        .value_kind:     hidden_global_offset_x
      - .offset:         112
        .size:           8
        .value_kind:     hidden_global_offset_y
      - .offset:         120
        .size:           8
        .value_kind:     hidden_global_offset_z
      - .offset:         128
        .size:           2
        .value_kind:     hidden_grid_dims
    .group_segment_fixed_size: 0
    .kernarg_segment_align: 8
    .kernarg_segment_size: 320
    .language:       OpenCL C
    .language_version:
      - 2
      - 0
    .max_flat_workgroup_size: 512
    .name:           _ZN9rocsparseL20coo2dense_aos_kernelILj512Ei21rocsparse_complex_numIfEEEvT0_S3_ll21rocsparse_index_base_PKT1_PKS3_PS5_16rocsparse_order_
    .private_segment_fixed_size: 0
    .sgpr_count:     21
    .sgpr_spill_count: 0
    .symbol:         _ZN9rocsparseL20coo2dense_aos_kernelILj512Ei21rocsparse_complex_numIfEEEvT0_S3_ll21rocsparse_index_base_PKT1_PKS3_PS5_16rocsparse_order_.kd
    .uniform_work_group_size: 1
    .uses_dynamic_stack: false
    .vgpr_count:     16
    .vgpr_spill_count: 0
    .wavefront_size: 64
  - .args:
      - .offset:         0
        .size:           4
        .value_kind:     by_value
      - .offset:         4
        .size:           4
        .value_kind:     by_value
      - .offset:         8
        .size:           8
        .value_kind:     by_value
      - .offset:         16
        .size:           8
        .value_kind:     by_value
      - .offset:         24
        .size:           4
        .value_kind:     by_value
      - .address_space:  global
        .offset:         32
        .size:           8
        .value_kind:     global_buffer
      - .address_space:  global
        .offset:         40
        .size:           8
        .value_kind:     global_buffer
      - .address_space:  global
        .offset:         48
        .size:           8
        .value_kind:     global_buffer
      - .offset:         56
        .size:           4
        .value_kind:     by_value
      - .offset:         64
        .size:           4
        .value_kind:     hidden_block_count_x
      - .offset:         68
        .size:           4
        .value_kind:     hidden_block_count_y
      - .offset:         72
        .size:           4
        .value_kind:     hidden_block_count_z
      - .offset:         76
        .size:           2
        .value_kind:     hidden_group_size_x
      - .offset:         78
        .size:           2
        .value_kind:     hidden_group_size_y
      - .offset:         80
        .size:           2
        .value_kind:     hidden_group_size_z
      - .offset:         82
        .size:           2
        .value_kind:     hidden_remainder_x
      - .offset:         84
        .size:           2
        .value_kind:     hidden_remainder_y
      - .offset:         86
        .size:           2
        .value_kind:     hidden_remainder_z
      - .offset:         104
        .size:           8
        .value_kind:     hidden_global_offset_x
      - .offset:         112
        .size:           8
        .value_kind:     hidden_global_offset_y
      - .offset:         120
        .size:           8
        .value_kind:     hidden_global_offset_z
      - .offset:         128
        .size:           2
        .value_kind:     hidden_grid_dims
    .group_segment_fixed_size: 0
    .kernarg_segment_align: 8
    .kernarg_segment_size: 320
    .language:       OpenCL C
    .language_version:
      - 2
      - 0
    .max_flat_workgroup_size: 512
    .name:           _ZN9rocsparseL20coo2dense_aos_kernelILj512Ei21rocsparse_complex_numIdEEEvT0_S3_ll21rocsparse_index_base_PKT1_PKS3_PS5_16rocsparse_order_
    .private_segment_fixed_size: 0
    .sgpr_count:     21
    .sgpr_spill_count: 0
    .symbol:         _ZN9rocsparseL20coo2dense_aos_kernelILj512Ei21rocsparse_complex_numIdEEEvT0_S3_ll21rocsparse_index_base_PKT1_PKS3_PS5_16rocsparse_order_.kd
    .uniform_work_group_size: 1
    .uses_dynamic_stack: false
    .vgpr_count:     18
    .vgpr_spill_count: 0
    .wavefront_size: 64
  - .args:
      - .offset:         0
        .size:           8
        .value_kind:     by_value
      - .offset:         8
        .size:           8
        .value_kind:     by_value
      - .offset:         16
        .size:           8
        .value_kind:     by_value
      - .offset:         24
        .size:           8
        .value_kind:     by_value
      - .offset:         32
        .size:           4
        .value_kind:     by_value
      - .address_space:  global
        .offset:         40
        .size:           8
        .value_kind:     global_buffer
      - .address_space:  global
        .offset:         48
        .size:           8
        .value_kind:     global_buffer
      - .address_space:  global
        .offset:         56
        .size:           8
        .value_kind:     global_buffer
      - .offset:         64
        .size:           4
        .value_kind:     by_value
      - .offset:         72
        .size:           4
        .value_kind:     hidden_block_count_x
      - .offset:         76
        .size:           4
        .value_kind:     hidden_block_count_y
      - .offset:         80
        .size:           4
        .value_kind:     hidden_block_count_z
      - .offset:         84
        .size:           2
        .value_kind:     hidden_group_size_x
      - .offset:         86
        .size:           2
        .value_kind:     hidden_group_size_y
      - .offset:         88
        .size:           2
        .value_kind:     hidden_group_size_z
      - .offset:         90
        .size:           2
        .value_kind:     hidden_remainder_x
      - .offset:         92
        .size:           2
        .value_kind:     hidden_remainder_y
      - .offset:         94
        .size:           2
        .value_kind:     hidden_remainder_z
      - .offset:         112
        .size:           8
        .value_kind:     hidden_global_offset_x
      - .offset:         120
        .size:           8
        .value_kind:     hidden_global_offset_y
      - .offset:         128
        .size:           8
        .value_kind:     hidden_global_offset_z
      - .offset:         136
        .size:           2
        .value_kind:     hidden_grid_dims
    .group_segment_fixed_size: 0
    .kernarg_segment_align: 8
    .kernarg_segment_size: 328
    .language:       OpenCL C
    .language_version:
      - 2
      - 0
    .max_flat_workgroup_size: 512
    .name:           _ZN9rocsparseL20coo2dense_aos_kernelILj512ElDF16_EEvT0_S1_ll21rocsparse_index_base_PKT1_PKS1_PS3_16rocsparse_order_
    .private_segment_fixed_size: 0
    .sgpr_count:     21
    .sgpr_spill_count: 0
    .symbol:         _ZN9rocsparseL20coo2dense_aos_kernelILj512ElDF16_EEvT0_S1_ll21rocsparse_index_base_PKT1_PKS1_PS3_16rocsparse_order_.kd
    .uniform_work_group_size: 1
    .uses_dynamic_stack: false
    .vgpr_count:     15
    .vgpr_spill_count: 0
    .wavefront_size: 64
  - .args:
      - .offset:         0
        .size:           8
        .value_kind:     by_value
      - .offset:         8
        .size:           8
        .value_kind:     by_value
      - .offset:         16
        .size:           8
        .value_kind:     by_value
      - .offset:         24
        .size:           8
        .value_kind:     by_value
      - .offset:         32
        .size:           4
        .value_kind:     by_value
      - .address_space:  global
        .offset:         40
        .size:           8
        .value_kind:     global_buffer
      - .address_space:  global
        .offset:         48
        .size:           8
        .value_kind:     global_buffer
      - .address_space:  global
        .offset:         56
        .size:           8
        .value_kind:     global_buffer
      - .offset:         64
        .size:           4
        .value_kind:     by_value
      - .offset:         72
        .size:           4
        .value_kind:     hidden_block_count_x
      - .offset:         76
        .size:           4
        .value_kind:     hidden_block_count_y
      - .offset:         80
        .size:           4
        .value_kind:     hidden_block_count_z
      - .offset:         84
        .size:           2
        .value_kind:     hidden_group_size_x
      - .offset:         86
        .size:           2
        .value_kind:     hidden_group_size_y
      - .offset:         88
        .size:           2
        .value_kind:     hidden_group_size_z
      - .offset:         90
        .size:           2
        .value_kind:     hidden_remainder_x
      - .offset:         92
        .size:           2
        .value_kind:     hidden_remainder_y
      - .offset:         94
        .size:           2
        .value_kind:     hidden_remainder_z
      - .offset:         112
        .size:           8
        .value_kind:     hidden_global_offset_x
      - .offset:         120
        .size:           8
        .value_kind:     hidden_global_offset_y
      - .offset:         128
        .size:           8
        .value_kind:     hidden_global_offset_z
      - .offset:         136
        .size:           2
        .value_kind:     hidden_grid_dims
    .group_segment_fixed_size: 0
    .kernarg_segment_align: 8
    .kernarg_segment_size: 328
    .language:       OpenCL C
    .language_version:
      - 2
      - 0
    .max_flat_workgroup_size: 512
    .name:           _ZN9rocsparseL20coo2dense_aos_kernelILj512ElfEEvT0_S1_ll21rocsparse_index_base_PKT1_PKS1_PS3_16rocsparse_order_
    .private_segment_fixed_size: 0
    .sgpr_count:     21
    .sgpr_spill_count: 0
    .symbol:         _ZN9rocsparseL20coo2dense_aos_kernelILj512ElfEEvT0_S1_ll21rocsparse_index_base_PKT1_PKS1_PS3_16rocsparse_order_.kd
    .uniform_work_group_size: 1
    .uses_dynamic_stack: false
    .vgpr_count:     15
    .vgpr_spill_count: 0
    .wavefront_size: 64
  - .args:
      - .offset:         0
        .size:           8
        .value_kind:     by_value
      - .offset:         8
        .size:           8
        .value_kind:     by_value
      - .offset:         16
        .size:           8
        .value_kind:     by_value
      - .offset:         24
        .size:           8
        .value_kind:     by_value
      - .offset:         32
        .size:           4
        .value_kind:     by_value
      - .address_space:  global
        .offset:         40
        .size:           8
        .value_kind:     global_buffer
      - .address_space:  global
        .offset:         48
        .size:           8
        .value_kind:     global_buffer
      - .address_space:  global
        .offset:         56
        .size:           8
        .value_kind:     global_buffer
      - .offset:         64
        .size:           4
        .value_kind:     by_value
      - .offset:         72
        .size:           4
        .value_kind:     hidden_block_count_x
      - .offset:         76
        .size:           4
        .value_kind:     hidden_block_count_y
      - .offset:         80
        .size:           4
        .value_kind:     hidden_block_count_z
      - .offset:         84
        .size:           2
        .value_kind:     hidden_group_size_x
      - .offset:         86
        .size:           2
        .value_kind:     hidden_group_size_y
      - .offset:         88
        .size:           2
        .value_kind:     hidden_group_size_z
      - .offset:         90
        .size:           2
        .value_kind:     hidden_remainder_x
      - .offset:         92
        .size:           2
        .value_kind:     hidden_remainder_y
      - .offset:         94
        .size:           2
        .value_kind:     hidden_remainder_z
      - .offset:         112
        .size:           8
        .value_kind:     hidden_global_offset_x
      - .offset:         120
        .size:           8
        .value_kind:     hidden_global_offset_y
      - .offset:         128
        .size:           8
        .value_kind:     hidden_global_offset_z
      - .offset:         136
        .size:           2
        .value_kind:     hidden_grid_dims
    .group_segment_fixed_size: 0
    .kernarg_segment_align: 8
    .kernarg_segment_size: 328
    .language:       OpenCL C
    .language_version:
      - 2
      - 0
    .max_flat_workgroup_size: 512
    .name:           _ZN9rocsparseL20coo2dense_aos_kernelILj512EldEEvT0_S1_ll21rocsparse_index_base_PKT1_PKS1_PS3_16rocsparse_order_
    .private_segment_fixed_size: 0
    .sgpr_count:     21
    .sgpr_spill_count: 0
    .symbol:         _ZN9rocsparseL20coo2dense_aos_kernelILj512EldEEvT0_S1_ll21rocsparse_index_base_PKT1_PKS1_PS3_16rocsparse_order_.kd
    .uniform_work_group_size: 1
    .uses_dynamic_stack: false
    .vgpr_count:     16
    .vgpr_spill_count: 0
    .wavefront_size: 64
  - .args:
      - .offset:         0
        .size:           8
        .value_kind:     by_value
      - .offset:         8
        .size:           8
        .value_kind:     by_value
      - .offset:         16
        .size:           8
        .value_kind:     by_value
      - .offset:         24
        .size:           8
        .value_kind:     by_value
      - .offset:         32
        .size:           4
        .value_kind:     by_value
      - .address_space:  global
        .offset:         40
        .size:           8
        .value_kind:     global_buffer
      - .address_space:  global
        .offset:         48
        .size:           8
        .value_kind:     global_buffer
      - .address_space:  global
        .offset:         56
        .size:           8
        .value_kind:     global_buffer
      - .offset:         64
        .size:           4
        .value_kind:     by_value
      - .offset:         72
        .size:           4
        .value_kind:     hidden_block_count_x
      - .offset:         76
        .size:           4
        .value_kind:     hidden_block_count_y
      - .offset:         80
        .size:           4
        .value_kind:     hidden_block_count_z
      - .offset:         84
        .size:           2
        .value_kind:     hidden_group_size_x
      - .offset:         86
        .size:           2
        .value_kind:     hidden_group_size_y
      - .offset:         88
        .size:           2
        .value_kind:     hidden_group_size_z
      - .offset:         90
        .size:           2
        .value_kind:     hidden_remainder_x
      - .offset:         92
        .size:           2
        .value_kind:     hidden_remainder_y
      - .offset:         94
        .size:           2
        .value_kind:     hidden_remainder_z
      - .offset:         112
        .size:           8
        .value_kind:     hidden_global_offset_x
      - .offset:         120
        .size:           8
        .value_kind:     hidden_global_offset_y
      - .offset:         128
        .size:           8
        .value_kind:     hidden_global_offset_z
      - .offset:         136
        .size:           2
        .value_kind:     hidden_grid_dims
    .group_segment_fixed_size: 0
    .kernarg_segment_align: 8
    .kernarg_segment_size: 328
    .language:       OpenCL C
    .language_version:
      - 2
      - 0
    .max_flat_workgroup_size: 512
    .name:           _ZN9rocsparseL20coo2dense_aos_kernelILj512El21rocsparse_complex_numIfEEEvT0_S3_ll21rocsparse_index_base_PKT1_PKS3_PS5_16rocsparse_order_
    .private_segment_fixed_size: 0
    .sgpr_count:     21
    .sgpr_spill_count: 0
    .symbol:         _ZN9rocsparseL20coo2dense_aos_kernelILj512El21rocsparse_complex_numIfEEEvT0_S3_ll21rocsparse_index_base_PKT1_PKS3_PS5_16rocsparse_order_.kd
    .uniform_work_group_size: 1
    .uses_dynamic_stack: false
    .vgpr_count:     16
    .vgpr_spill_count: 0
    .wavefront_size: 64
  - .args:
      - .offset:         0
        .size:           8
        .value_kind:     by_value
      - .offset:         8
        .size:           8
        .value_kind:     by_value
      - .offset:         16
        .size:           8
        .value_kind:     by_value
      - .offset:         24
        .size:           8
        .value_kind:     by_value
      - .offset:         32
        .size:           4
        .value_kind:     by_value
      - .address_space:  global
        .offset:         40
        .size:           8
        .value_kind:     global_buffer
      - .address_space:  global
        .offset:         48
        .size:           8
        .value_kind:     global_buffer
      - .address_space:  global
        .offset:         56
        .size:           8
        .value_kind:     global_buffer
      - .offset:         64
        .size:           4
        .value_kind:     by_value
      - .offset:         72
        .size:           4
        .value_kind:     hidden_block_count_x
      - .offset:         76
        .size:           4
        .value_kind:     hidden_block_count_y
      - .offset:         80
        .size:           4
        .value_kind:     hidden_block_count_z
      - .offset:         84
        .size:           2
        .value_kind:     hidden_group_size_x
      - .offset:         86
        .size:           2
        .value_kind:     hidden_group_size_y
      - .offset:         88
        .size:           2
        .value_kind:     hidden_group_size_z
      - .offset:         90
        .size:           2
        .value_kind:     hidden_remainder_x
      - .offset:         92
        .size:           2
        .value_kind:     hidden_remainder_y
      - .offset:         94
        .size:           2
        .value_kind:     hidden_remainder_z
      - .offset:         112
        .size:           8
        .value_kind:     hidden_global_offset_x
      - .offset:         120
        .size:           8
        .value_kind:     hidden_global_offset_y
      - .offset:         128
        .size:           8
        .value_kind:     hidden_global_offset_z
      - .offset:         136
        .size:           2
        .value_kind:     hidden_grid_dims
    .group_segment_fixed_size: 0
    .kernarg_segment_align: 8
    .kernarg_segment_size: 328
    .language:       OpenCL C
    .language_version:
      - 2
      - 0
    .max_flat_workgroup_size: 512
    .name:           _ZN9rocsparseL20coo2dense_aos_kernelILj512El21rocsparse_complex_numIdEEEvT0_S3_ll21rocsparse_index_base_PKT1_PKS3_PS5_16rocsparse_order_
    .private_segment_fixed_size: 0
    .sgpr_count:     21
    .sgpr_spill_count: 0
    .symbol:         _ZN9rocsparseL20coo2dense_aos_kernelILj512El21rocsparse_complex_numIdEEEvT0_S3_ll21rocsparse_index_base_PKT1_PKS3_PS5_16rocsparse_order_.kd
    .uniform_work_group_size: 1
    .uses_dynamic_stack: false
    .vgpr_count:     18
    .vgpr_spill_count: 0
    .wavefront_size: 64
amdhsa.target:   amdgcn-amd-amdhsa--gfx906
amdhsa.version:
  - 1
  - 2
...

	.end_amdgpu_metadata
